;; amdgpu-corpus repo=ROCm/rocFFT kind=compiled arch=gfx1201 opt=O3
	.text
	.amdgcn_target "amdgcn-amd-amdhsa--gfx1201"
	.amdhsa_code_object_version 6
	.protected	fft_rtc_fwd_len2028_factors_13_4_3_13_wgs_156_tpt_156_dp_ip_CI_unitstride_sbrr_R2C_dirReg ; -- Begin function fft_rtc_fwd_len2028_factors_13_4_3_13_wgs_156_tpt_156_dp_ip_CI_unitstride_sbrr_R2C_dirReg
	.globl	fft_rtc_fwd_len2028_factors_13_4_3_13_wgs_156_tpt_156_dp_ip_CI_unitstride_sbrr_R2C_dirReg
	.p2align	8
	.type	fft_rtc_fwd_len2028_factors_13_4_3_13_wgs_156_tpt_156_dp_ip_CI_unitstride_sbrr_R2C_dirReg,@function
fft_rtc_fwd_len2028_factors_13_4_3_13_wgs_156_tpt_156_dp_ip_CI_unitstride_sbrr_R2C_dirReg: ; @fft_rtc_fwd_len2028_factors_13_4_3_13_wgs_156_tpt_156_dp_ip_CI_unitstride_sbrr_R2C_dirReg
; %bb.0:
	s_clause 0x2
	s_load_b128 s[4:7], s[0:1], 0x0
	s_load_b64 s[8:9], s[0:1], 0x50
	s_load_b64 s[10:11], s[0:1], 0x18
	v_mul_u32_u24_e32 v1, 0x1a5, v0
	v_mov_b32_e32 v3, 0
	s_delay_alu instid0(VALU_DEP_2) | instskip(NEXT) | instid1(VALU_DEP_1)
	v_lshrrev_b32_e32 v1, 16, v1
	v_add_nc_u32_e32 v5, ttmp9, v1
	v_mov_b32_e32 v1, 0
	v_mov_b32_e32 v2, 0
	;; [unrolled: 1-line block ×3, first 2 shown]
	s_wait_kmcnt 0x0
	v_cmp_lt_u64_e64 s2, s[6:7], 2
	s_delay_alu instid0(VALU_DEP_1)
	s_and_b32 vcc_lo, exec_lo, s2
	s_cbranch_vccnz .LBB0_8
; %bb.1:
	s_load_b64 s[2:3], s[0:1], 0x10
	v_mov_b32_e32 v1, 0
	v_mov_b32_e32 v2, 0
	s_add_nc_u64 s[12:13], s[10:11], 8
	s_mov_b64 s[14:15], 1
	s_wait_kmcnt 0x0
	s_add_nc_u64 s[16:17], s[2:3], 8
	s_mov_b32 s3, 0
.LBB0_2:                                ; =>This Inner Loop Header: Depth=1
	s_load_b64 s[18:19], s[16:17], 0x0
                                        ; implicit-def: $vgpr7_vgpr8
	s_mov_b32 s2, exec_lo
	s_wait_kmcnt 0x0
	v_or_b32_e32 v4, s19, v6
	s_delay_alu instid0(VALU_DEP_1)
	v_cmpx_ne_u64_e32 0, v[3:4]
	s_wait_alu 0xfffe
	s_xor_b32 s20, exec_lo, s2
	s_cbranch_execz .LBB0_4
; %bb.3:                                ;   in Loop: Header=BB0_2 Depth=1
	s_cvt_f32_u32 s2, s18
	s_cvt_f32_u32 s21, s19
	s_sub_nc_u64 s[24:25], 0, s[18:19]
	s_wait_alu 0xfffe
	s_delay_alu instid0(SALU_CYCLE_1) | instskip(SKIP_1) | instid1(SALU_CYCLE_2)
	s_fmamk_f32 s2, s21, 0x4f800000, s2
	s_wait_alu 0xfffe
	v_s_rcp_f32 s2, s2
	s_delay_alu instid0(TRANS32_DEP_1) | instskip(SKIP_1) | instid1(SALU_CYCLE_2)
	s_mul_f32 s2, s2, 0x5f7ffffc
	s_wait_alu 0xfffe
	s_mul_f32 s21, s2, 0x2f800000
	s_wait_alu 0xfffe
	s_delay_alu instid0(SALU_CYCLE_2) | instskip(SKIP_1) | instid1(SALU_CYCLE_2)
	s_trunc_f32 s21, s21
	s_wait_alu 0xfffe
	s_fmamk_f32 s2, s21, 0xcf800000, s2
	s_cvt_u32_f32 s23, s21
	s_wait_alu 0xfffe
	s_delay_alu instid0(SALU_CYCLE_1) | instskip(SKIP_1) | instid1(SALU_CYCLE_2)
	s_cvt_u32_f32 s22, s2
	s_wait_alu 0xfffe
	s_mul_u64 s[26:27], s[24:25], s[22:23]
	s_wait_alu 0xfffe
	s_mul_hi_u32 s29, s22, s27
	s_mul_i32 s28, s22, s27
	s_mul_hi_u32 s2, s22, s26
	s_mul_i32 s30, s23, s26
	s_wait_alu 0xfffe
	s_add_nc_u64 s[28:29], s[2:3], s[28:29]
	s_mul_hi_u32 s21, s23, s26
	s_mul_hi_u32 s31, s23, s27
	s_add_co_u32 s2, s28, s30
	s_wait_alu 0xfffe
	s_add_co_ci_u32 s2, s29, s21
	s_mul_i32 s26, s23, s27
	s_add_co_ci_u32 s27, s31, 0
	s_wait_alu 0xfffe
	s_add_nc_u64 s[26:27], s[2:3], s[26:27]
	s_wait_alu 0xfffe
	v_add_co_u32 v4, s2, s22, s26
	s_delay_alu instid0(VALU_DEP_1) | instskip(SKIP_1) | instid1(VALU_DEP_1)
	s_cmp_lg_u32 s2, 0
	s_add_co_ci_u32 s23, s23, s27
	v_readfirstlane_b32 s22, v4
	s_wait_alu 0xfffe
	s_delay_alu instid0(VALU_DEP_1)
	s_mul_u64 s[24:25], s[24:25], s[22:23]
	s_wait_alu 0xfffe
	s_mul_hi_u32 s27, s22, s25
	s_mul_i32 s26, s22, s25
	s_mul_hi_u32 s2, s22, s24
	s_mul_i32 s28, s23, s24
	s_wait_alu 0xfffe
	s_add_nc_u64 s[26:27], s[2:3], s[26:27]
	s_mul_hi_u32 s21, s23, s24
	s_mul_hi_u32 s22, s23, s25
	s_wait_alu 0xfffe
	s_add_co_u32 s2, s26, s28
	s_add_co_ci_u32 s2, s27, s21
	s_mul_i32 s24, s23, s25
	s_add_co_ci_u32 s25, s22, 0
	s_wait_alu 0xfffe
	s_add_nc_u64 s[24:25], s[2:3], s[24:25]
	s_wait_alu 0xfffe
	v_add_co_u32 v4, s2, v4, s24
	s_delay_alu instid0(VALU_DEP_1) | instskip(SKIP_1) | instid1(VALU_DEP_1)
	s_cmp_lg_u32 s2, 0
	s_add_co_ci_u32 s2, s23, s25
	v_mul_hi_u32 v13, v5, v4
	s_wait_alu 0xfffe
	v_mad_co_u64_u32 v[7:8], null, v5, s2, 0
	v_mad_co_u64_u32 v[9:10], null, v6, v4, 0
	;; [unrolled: 1-line block ×3, first 2 shown]
	s_delay_alu instid0(VALU_DEP_3) | instskip(SKIP_1) | instid1(VALU_DEP_4)
	v_add_co_u32 v4, vcc_lo, v13, v7
	s_wait_alu 0xfffd
	v_add_co_ci_u32_e32 v7, vcc_lo, 0, v8, vcc_lo
	s_delay_alu instid0(VALU_DEP_2) | instskip(SKIP_1) | instid1(VALU_DEP_2)
	v_add_co_u32 v4, vcc_lo, v4, v9
	s_wait_alu 0xfffd
	v_add_co_ci_u32_e32 v4, vcc_lo, v7, v10, vcc_lo
	s_wait_alu 0xfffd
	v_add_co_ci_u32_e32 v7, vcc_lo, 0, v12, vcc_lo
	s_delay_alu instid0(VALU_DEP_2) | instskip(SKIP_1) | instid1(VALU_DEP_2)
	v_add_co_u32 v4, vcc_lo, v4, v11
	s_wait_alu 0xfffd
	v_add_co_ci_u32_e32 v9, vcc_lo, 0, v7, vcc_lo
	s_delay_alu instid0(VALU_DEP_2) | instskip(SKIP_1) | instid1(VALU_DEP_3)
	v_mul_lo_u32 v10, s19, v4
	v_mad_co_u64_u32 v[7:8], null, s18, v4, 0
	v_mul_lo_u32 v11, s18, v9
	s_delay_alu instid0(VALU_DEP_2) | instskip(NEXT) | instid1(VALU_DEP_2)
	v_sub_co_u32 v7, vcc_lo, v5, v7
	v_add3_u32 v8, v8, v11, v10
	s_delay_alu instid0(VALU_DEP_1) | instskip(SKIP_1) | instid1(VALU_DEP_1)
	v_sub_nc_u32_e32 v10, v6, v8
	s_wait_alu 0xfffd
	v_subrev_co_ci_u32_e64 v10, s2, s19, v10, vcc_lo
	v_add_co_u32 v11, s2, v4, 2
	s_wait_alu 0xf1ff
	v_add_co_ci_u32_e64 v12, s2, 0, v9, s2
	v_sub_co_u32 v13, s2, v7, s18
	v_sub_co_ci_u32_e32 v8, vcc_lo, v6, v8, vcc_lo
	s_wait_alu 0xf1ff
	v_subrev_co_ci_u32_e64 v10, s2, 0, v10, s2
	s_delay_alu instid0(VALU_DEP_3) | instskip(NEXT) | instid1(VALU_DEP_3)
	v_cmp_le_u32_e32 vcc_lo, s18, v13
	v_cmp_eq_u32_e64 s2, s19, v8
	s_wait_alu 0xfffd
	v_cndmask_b32_e64 v13, 0, -1, vcc_lo
	v_cmp_le_u32_e32 vcc_lo, s19, v10
	s_wait_alu 0xfffd
	v_cndmask_b32_e64 v14, 0, -1, vcc_lo
	v_cmp_le_u32_e32 vcc_lo, s18, v7
	;; [unrolled: 3-line block ×3, first 2 shown]
	s_wait_alu 0xfffd
	v_cndmask_b32_e64 v15, 0, -1, vcc_lo
	v_cmp_eq_u32_e32 vcc_lo, s19, v10
	s_wait_alu 0xf1ff
	s_delay_alu instid0(VALU_DEP_2)
	v_cndmask_b32_e64 v7, v15, v7, s2
	s_wait_alu 0xfffd
	v_cndmask_b32_e32 v10, v14, v13, vcc_lo
	v_add_co_u32 v13, vcc_lo, v4, 1
	s_wait_alu 0xfffd
	v_add_co_ci_u32_e32 v14, vcc_lo, 0, v9, vcc_lo
	s_delay_alu instid0(VALU_DEP_3) | instskip(SKIP_2) | instid1(VALU_DEP_3)
	v_cmp_ne_u32_e32 vcc_lo, 0, v10
	s_wait_alu 0xfffd
	v_cndmask_b32_e32 v10, v13, v11, vcc_lo
	v_cndmask_b32_e32 v8, v14, v12, vcc_lo
	v_cmp_ne_u32_e32 vcc_lo, 0, v7
	s_wait_alu 0xfffd
	s_delay_alu instid0(VALU_DEP_2)
	v_dual_cndmask_b32 v7, v4, v10 :: v_dual_cndmask_b32 v8, v9, v8
.LBB0_4:                                ;   in Loop: Header=BB0_2 Depth=1
	s_wait_alu 0xfffe
	s_and_not1_saveexec_b32 s2, s20
	s_cbranch_execz .LBB0_6
; %bb.5:                                ;   in Loop: Header=BB0_2 Depth=1
	v_cvt_f32_u32_e32 v4, s18
	s_sub_co_i32 s20, 0, s18
	s_delay_alu instid0(VALU_DEP_1) | instskip(NEXT) | instid1(TRANS32_DEP_1)
	v_rcp_iflag_f32_e32 v4, v4
	v_mul_f32_e32 v4, 0x4f7ffffe, v4
	s_delay_alu instid0(VALU_DEP_1) | instskip(SKIP_1) | instid1(VALU_DEP_1)
	v_cvt_u32_f32_e32 v4, v4
	s_wait_alu 0xfffe
	v_mul_lo_u32 v7, s20, v4
	s_delay_alu instid0(VALU_DEP_1) | instskip(NEXT) | instid1(VALU_DEP_1)
	v_mul_hi_u32 v7, v4, v7
	v_add_nc_u32_e32 v4, v4, v7
	s_delay_alu instid0(VALU_DEP_1) | instskip(NEXT) | instid1(VALU_DEP_1)
	v_mul_hi_u32 v4, v5, v4
	v_mul_lo_u32 v7, v4, s18
	v_add_nc_u32_e32 v8, 1, v4
	s_delay_alu instid0(VALU_DEP_2) | instskip(NEXT) | instid1(VALU_DEP_1)
	v_sub_nc_u32_e32 v7, v5, v7
	v_subrev_nc_u32_e32 v9, s18, v7
	v_cmp_le_u32_e32 vcc_lo, s18, v7
	s_wait_alu 0xfffd
	s_delay_alu instid0(VALU_DEP_2) | instskip(NEXT) | instid1(VALU_DEP_1)
	v_dual_cndmask_b32 v7, v7, v9 :: v_dual_cndmask_b32 v4, v4, v8
	v_cmp_le_u32_e32 vcc_lo, s18, v7
	s_delay_alu instid0(VALU_DEP_2) | instskip(SKIP_1) | instid1(VALU_DEP_1)
	v_add_nc_u32_e32 v8, 1, v4
	s_wait_alu 0xfffd
	v_dual_cndmask_b32 v7, v4, v8 :: v_dual_mov_b32 v8, v3
.LBB0_6:                                ;   in Loop: Header=BB0_2 Depth=1
	s_wait_alu 0xfffe
	s_or_b32 exec_lo, exec_lo, s2
	s_load_b64 s[20:21], s[12:13], 0x0
	s_delay_alu instid0(VALU_DEP_1)
	v_mul_lo_u32 v4, v8, s18
	v_mul_lo_u32 v11, v7, s19
	v_mad_co_u64_u32 v[9:10], null, v7, s18, 0
	s_add_nc_u64 s[14:15], s[14:15], 1
	s_add_nc_u64 s[12:13], s[12:13], 8
	s_wait_alu 0xfffe
	v_cmp_ge_u64_e64 s2, s[14:15], s[6:7]
	s_add_nc_u64 s[16:17], s[16:17], 8
	s_delay_alu instid0(VALU_DEP_2) | instskip(NEXT) | instid1(VALU_DEP_3)
	v_add3_u32 v4, v10, v11, v4
	v_sub_co_u32 v5, vcc_lo, v5, v9
	s_wait_alu 0xfffd
	s_delay_alu instid0(VALU_DEP_2) | instskip(SKIP_3) | instid1(VALU_DEP_2)
	v_sub_co_ci_u32_e32 v4, vcc_lo, v6, v4, vcc_lo
	s_and_b32 vcc_lo, exec_lo, s2
	s_wait_kmcnt 0x0
	v_mul_lo_u32 v6, s21, v5
	v_mul_lo_u32 v4, s20, v4
	v_mad_co_u64_u32 v[1:2], null, s20, v5, v[1:2]
	s_delay_alu instid0(VALU_DEP_1)
	v_add3_u32 v2, v6, v2, v4
	s_wait_alu 0xfffe
	s_cbranch_vccnz .LBB0_9
; %bb.7:                                ;   in Loop: Header=BB0_2 Depth=1
	v_dual_mov_b32 v5, v7 :: v_dual_mov_b32 v6, v8
	s_branch .LBB0_2
.LBB0_8:
	v_dual_mov_b32 v8, v6 :: v_dual_mov_b32 v7, v5
.LBB0_9:
	s_lshl_b64 s[2:3], s[6:7], 3
	v_mul_hi_u32 v3, 0x1a41a42, v0
	s_wait_alu 0xfffe
	s_add_nc_u64 s[2:3], s[10:11], s[2:3]
	s_load_b64 s[0:1], s[0:1], 0x20
	s_load_b64 s[2:3], s[2:3], 0x0
	s_delay_alu instid0(VALU_DEP_1) | instskip(NEXT) | instid1(VALU_DEP_1)
	v_mul_u32_u24_e32 v3, 0x9c, v3
	v_sub_nc_u32_e32 v64, v0, v3
	s_delay_alu instid0(VALU_DEP_1)
	v_add_nc_u32_e32 v69, 0x9c, v64
	v_add_nc_u32_e32 v71, 0x138, v64
	;; [unrolled: 1-line block ×3, first 2 shown]
	s_wait_kmcnt 0x0
	v_cmp_gt_u64_e32 vcc_lo, s[0:1], v[7:8]
	v_mul_lo_u32 v3, s2, v8
	v_mul_lo_u32 v4, s3, v7
	v_mad_co_u64_u32 v[0:1], null, s2, v7, v[1:2]
	v_cmp_le_u64_e64 s0, s[0:1], v[7:8]
	s_delay_alu instid0(VALU_DEP_2) | instskip(NEXT) | instid1(VALU_DEP_2)
	v_add3_u32 v1, v4, v1, v3
	s_and_saveexec_b32 s1, s0
	s_wait_alu 0xfffe
	s_xor_b32 s0, exec_lo, s1
; %bb.10:
	v_add_nc_u32_e32 v69, 0x9c, v64
	v_add_nc_u32_e32 v71, 0x138, v64
	;; [unrolled: 1-line block ×3, first 2 shown]
; %bb.11:
	s_wait_alu 0xfffe
	s_or_saveexec_b32 s1, s0
	v_lshlrev_b64_e32 v[0:1], 4, v[0:1]
	v_lshl_add_u32 v84, v64, 4, 0
	scratch_store_b64 off, v[0:1], off      ; 8-byte Folded Spill
	s_wait_alu 0xfffe
	s_xor_b32 exec_lo, exec_lo, s1
	s_cbranch_execz .LBB0_13
; %bb.12:
	scratch_load_b64 v[2:3], off, off       ; 8-byte Folded Reload
	v_mov_b32_e32 v65, 0
	s_delay_alu instid0(VALU_DEP_1) | instskip(SKIP_4) | instid1(VALU_DEP_2)
	v_lshlrev_b64_e32 v[0:1], 4, v[64:65]
	s_wait_loadcnt 0x0
	v_add_co_u32 v2, s0, s8, v2
	s_wait_alu 0xf1ff
	v_add_co_ci_u32_e64 v3, s0, s9, v3, s0
	v_add_co_u32 v48, s0, v2, v0
	s_wait_alu 0xf1ff
	s_delay_alu instid0(VALU_DEP_2)
	v_add_co_ci_u32_e64 v49, s0, v3, v1, s0
	s_clause 0xc
	global_load_b128 v[0:3], v[48:49], off
	global_load_b128 v[4:7], v[48:49], off offset:2496
	global_load_b128 v[8:11], v[48:49], off offset:4992
	;; [unrolled: 1-line block ×12, first 2 shown]
	s_wait_loadcnt 0xc
	ds_store_b128 v84, v[0:3]
	s_wait_loadcnt 0xb
	ds_store_b128 v84, v[4:7] offset:2496
	s_wait_loadcnt 0xa
	ds_store_b128 v84, v[8:11] offset:4992
	;; [unrolled: 2-line block ×12, first 2 shown]
.LBB0_13:
	s_or_b32 exec_lo, exec_lo, s1
	global_wb scope:SCOPE_SE
	s_wait_storecnt_dscnt 0x0
	s_barrier_signal -1
	s_barrier_wait -1
	global_inv scope:SCOPE_SE
	ds_load_b128 v[16:19], v84
	ds_load_b128 v[32:35], v84 offset:2496
	ds_load_b128 v[48:51], v84 offset:4992
	;; [unrolled: 1-line block ×3, first 2 shown]
	s_mov_b32 s22, 0x42a4c3d2
	s_mov_b32 s24, 0x66966769
	;; [unrolled: 1-line block ×18, first 2 shown]
	s_wait_dscnt 0x2
	v_add_f64_e32 v[0:1], v[16:17], v[32:33]
	v_add_f64_e32 v[2:3], v[18:19], v[34:35]
	s_mov_b32 s1, 0x3fec55a7
	s_mov_b32 s3, 0x3fe22d96
	s_mov_b32 s7, 0x3fbedb7d
	s_mov_b32 s11, 0xbfd6b1d8
	s_mov_b32 s13, 0xbfe7f3cc
	s_mov_b32 s15, 0xbfef11f4
	s_mov_b32 s31, 0x3fe5384d
	s_wait_alu 0xfffe
	s_mov_b32 s30, s20
	s_mov_b32 s29, 0x3fefc445
	;; [unrolled: 1-line block ×9, first 2 shown]
	s_wait_dscnt 0x1
	s_delay_alu instid0(VALU_DEP_2) | instskip(NEXT) | instid1(VALU_DEP_2)
	v_add_f64_e32 v[52:53], v[0:1], v[48:49]
	v_add_f64_e32 v[54:55], v[2:3], v[50:51]
	ds_load_b128 v[44:47], v84 offset:9984
	ds_load_b128 v[36:39], v84 offset:12480
	;; [unrolled: 1-line block ×9, first 2 shown]
	global_wb scope:SCOPE_SE
	s_wait_dscnt 0x0
	s_barrier_signal -1
	s_barrier_wait -1
	global_inv scope:SCOPE_SE
	v_add_f64_e64 v[91:92], v[30:31], -v[26:27]
	v_add_f64_e64 v[80:81], v[38:39], -v[22:23]
	;; [unrolled: 1-line block ×5, first 2 shown]
	v_add_f64_e32 v[95:96], v[36:37], v[20:21]
	v_add_f64_e32 v[97:98], v[38:39], v[22:23]
	v_add_f64_e64 v[60:61], v[50:51], -v[6:7]
	v_add_f64_e64 v[62:63], v[48:49], -v[4:5]
	v_add_f64_e32 v[85:86], v[32:33], v[0:1]
	v_add_f64_e32 v[87:88], v[34:35], v[2:3]
	v_add_f64_e64 v[72:73], v[42:43], -v[10:11]
	v_add_f64_e64 v[93:94], v[28:29], -v[24:25]
	v_add_f64_e32 v[34:35], v[28:29], v[24:25]
	v_add_f64_e32 v[32:33], v[30:31], v[26:27]
	v_add_f64_e64 v[74:75], v[40:41], -v[8:9]
	v_add_f64_e32 v[48:49], v[48:49], v[4:5]
	v_add_f64_e32 v[50:51], v[50:51], v[6:7]
	;; [unrolled: 1-line block ×3, first 2 shown]
	v_add_f64_e64 v[76:77], v[46:47], -v[14:15]
	v_add_f64_e64 v[78:79], v[44:45], -v[12:13]
	v_add_f64_e32 v[52:53], v[52:53], v[40:41]
	v_add_f64_e32 v[54:55], v[54:55], v[42:43]
	;; [unrolled: 1-line block ×3, first 2 shown]
	v_mul_f64_e32 v[147:148], s[20:21], v[91:92]
	v_mul_f64_e32 v[131:132], s[28:29], v[80:81]
	;; [unrolled: 1-line block ×19, first 2 shown]
	s_mov_b32 s17, 0x3fddbe06
	v_mul_f64_e32 v[149:150], s[30:31], v[60:61]
	v_add_f64_e32 v[52:53], v[52:53], v[44:45]
	v_add_f64_e32 v[54:55], v[54:55], v[46:47]
	v_mul_f64_e32 v[161:162], s[28:29], v[60:61]
	v_mul_f64_e32 v[163:164], s[28:29], v[62:63]
	;; [unrolled: 1-line block ×5, first 2 shown]
	s_wait_alu 0xfffe
	v_mul_f64_e32 v[60:61], s[16:17], v[60:61]
	v_mul_f64_e32 v[123:124], s[18:19], v[72:73]
	;; [unrolled: 1-line block ×12, first 2 shown]
	v_add_f64_e32 v[44:45], v[44:45], v[12:13]
	v_fma_f64 v[205:206], v[85:86], s[0:1], -v[99:100]
	v_fma_f64 v[99:100], v[85:86], s[0:1], v[99:100]
	v_fma_f64 v[207:208], v[85:86], s[2:3], -v[101:102]
	v_add_f64_e32 v[46:47], v[46:47], v[14:15]
	v_fma_f64 v[209:210], v[85:86], s[12:13], -v[107:108]
	v_fma_f64 v[107:108], v[85:86], s[12:13], v[107:108]
	v_fma_f64 v[211:212], v[85:86], s[14:15], -v[56:57]
	v_fma_f64 v[213:214], v[87:88], s[0:1], v[109:110]
	v_fma_f64 v[56:57], v[85:86], s[14:15], v[56:57]
	;; [unrolled: 1-line block ×6, first 2 shown]
	v_fma_f64 v[113:114], v[87:88], s[6:7], -v[113:114]
	v_fma_f64 v[115:116], v[87:88], s[10:11], -v[115:116]
	;; [unrolled: 1-line block ×4, first 2 shown]
	v_fma_f64 v[223:224], v[50:51], s[10:11], v[121:122]
	v_add_f64_e32 v[36:37], v[52:53], v[36:37]
	v_add_f64_e32 v[38:39], v[54:55], v[38:39]
	v_mul_f64_e32 v[52:53], s[30:31], v[62:63]
	v_mul_f64_e32 v[62:63], s[16:17], v[62:63]
	v_fma_f64 v[229:230], v[48:49], s[14:15], -v[135:136]
	v_fma_f64 v[231:232], v[50:51], s[14:15], v[137:138]
	v_fma_f64 v[237:238], v[48:49], s[12:13], -v[149:150]
	v_fma_f64 v[241:242], v[48:49], s[6:7], -v[161:162]
	v_fma_f64 v[243:244], v[50:51], s[6:7], v[163:164]
	v_fma_f64 v[249:250], v[89:90], s[12:13], -v[177:178]
	v_fma_f64 v[135:136], v[48:49], s[14:15], v[135:136]
	v_fma_f64 v[149:150], v[48:49], s[12:13], v[149:150]
	;; [unrolled: 1-line block ×3, first 2 shown]
	v_fma_f64 v[121:122], v[50:51], s[10:11], -v[121:122]
	v_fma_f64 v[137:138], v[50:51], s[14:15], -v[137:138]
	;; [unrolled: 1-line block ×3, first 2 shown]
	v_mul_f64_e32 v[127:128], s[30:31], v[76:77]
	v_mul_f64_e32 v[129:130], s[30:31], v[78:79]
	v_fma_f64 v[225:226], v[89:90], s[14:15], -v[123:124]
	v_fma_f64 v[227:228], v[42:43], s[14:15], v[125:126]
	v_add_f64_e32 v[205:206], v[16:17], v[205:206]
	v_add_f64_e32 v[99:100], v[16:17], v[99:100]
	;; [unrolled: 1-line block ×3, first 2 shown]
	v_mul_f64_e32 v[54:55], s[24:25], v[76:77]
	v_add_f64_e32 v[209:210], v[16:17], v[209:210]
	v_add_f64_e32 v[107:108], v[16:17], v[107:108]
	v_add_f64_e32 v[211:212], v[16:17], v[211:212]
	v_add_f64_e32 v[213:214], v[18:19], v[213:214]
	v_mul_f64_e32 v[151:152], s[24:25], v[78:79]
	v_add_f64_e32 v[215:216], v[18:19], v[215:216]
	v_add_f64_e32 v[217:218], v[18:19], v[217:218]
	;; [unrolled: 1-line block ×7, first 2 shown]
	v_mul_f64_e32 v[169:170], s[38:39], v[76:77]
	v_mul_f64_e32 v[171:172], s[38:39], v[78:79]
	v_add_f64_e32 v[28:29], v[36:37], v[28:29]
	v_add_f64_e32 v[30:31], v[38:39], v[30:31]
	v_fma_f64 v[36:37], v[85:86], s[2:3], v[101:102]
	v_fma_f64 v[38:39], v[85:86], s[6:7], -v[103:104]
	v_fma_f64 v[101:102], v[85:86], s[6:7], v[103:104]
	v_fma_f64 v[103:104], v[85:86], s[10:11], -v[105:106]
	;; [unrolled: 2-line block ×4, first 2 shown]
	v_fma_f64 v[87:88], v[48:49], s[10:11], -v[119:120]
	v_fma_f64 v[239:240], v[50:51], s[12:13], v[52:53]
	v_fma_f64 v[119:120], v[48:49], s[10:11], v[119:120]
	v_fma_f64 v[52:53], v[50:51], s[12:13], -v[52:53]
	v_mul_f64_e32 v[181:182], s[34:35], v[76:77]
	v_mul_f64_e32 v[183:184], s[34:35], v[78:79]
	;; [unrolled: 1-line block ×4, first 2 shown]
	v_fma_f64 v[233:234], v[89:90], s[10:11], -v[139:140]
	v_fma_f64 v[235:236], v[42:43], s[10:11], v[141:142]
	v_mul_f64_e32 v[76:77], s[16:17], v[76:77]
	v_mul_f64_e32 v[78:79], s[16:17], v[78:79]
	v_fma_f64 v[245:246], v[89:90], s[2:3], -v[165:166]
	v_fma_f64 v[123:124], v[89:90], s[14:15], v[123:124]
	v_fma_f64 v[139:140], v[89:90], s[10:11], v[139:140]
	;; [unrolled: 1-line block ×4, first 2 shown]
	v_add_f64_e32 v[209:210], v[241:242], v[209:210]
	v_fma_f64 v[125:126], v[42:43], s[14:15], -v[125:126]
	v_add_f64_e32 v[215:216], v[231:232], v[215:216]
	v_fma_f64 v[141:142], v[42:43], s[10:11], -v[141:142]
	;; [unrolled: 2-line block ×3, first 2 shown]
	v_add_f64_e32 v[107:108], v[161:162], v[107:108]
	v_add_f64_e32 v[113:114], v[137:138], v[113:114]
	;; [unrolled: 1-line block ×3, first 2 shown]
	v_fma_f64 v[231:232], v[44:45], s[12:13], -v[127:128]
	v_mul_f64_e32 v[143:144], s[22:23], v[80:81]
	v_add_f64_e32 v[24:25], v[28:29], v[24:25]
	v_add_f64_e32 v[26:27], v[30:31], v[26:27]
	v_fma_f64 v[30:31], v[48:49], s[2:3], -v[193:194]
	v_add_f64_e32 v[38:39], v[16:17], v[38:39]
	v_fma_f64 v[193:194], v[48:49], s[2:3], v[193:194]
	v_add_f64_e32 v[103:104], v[16:17], v[103:104]
	v_add_f64_e32 v[36:37], v[16:17], v[36:37]
	;; [unrolled: 1-line block ×9, first 2 shown]
	v_fma_f64 v[56:57], v[50:51], s[2:3], v[195:196]
	v_fma_f64 v[58:59], v[50:51], s[2:3], -v[195:196]
	v_add_f64_e32 v[87:88], v[87:88], v[207:208]
	v_fma_f64 v[195:196], v[89:90], s[6:7], -v[197:198]
	v_fma_f64 v[197:198], v[89:90], s[6:7], v[197:198]
	v_add_f64_e32 v[217:218], v[239:240], v[217:218]
	v_fma_f64 v[28:29], v[42:43], s[12:13], v[179:180]
	v_fma_f64 v[179:180], v[42:43], s[12:13], -v[179:180]
	v_add_f64_e32 v[52:53], v[52:53], v[115:116]
	v_mul_f64_e32 v[145:146], s[22:23], v[82:83]
	v_mul_f64_e32 v[153:154], s[38:39], v[80:81]
	v_mul_f64_e32 v[155:156], s[38:39], v[82:83]
	v_mul_f64_e32 v[185:186], s[26:27], v[80:81]
	v_mul_f64_e32 v[187:188], s[26:27], v[82:83]
	v_mul_f64_e32 v[207:208], s[20:21], v[82:83]
	v_add_f64_e32 v[215:216], v[235:236], v[215:216]
	v_fma_f64 v[235:236], v[46:47], s[0:1], v[78:79]
	v_mul_f64_e32 v[82:83], s[16:17], v[82:83]
	v_fma_f64 v[137:138], v[44:45], s[14:15], -v[169:170]
	v_fma_f64 v[161:162], v[44:45], s[2:3], -v[181:182]
	v_fma_f64 v[163:164], v[46:47], s[2:3], v[183:184]
	v_fma_f64 v[169:170], v[44:45], s[14:15], v[169:170]
	;; [unrolled: 1-line block ×4, first 2 shown]
	v_add_f64_e32 v[20:21], v[24:25], v[20:21]
	v_add_f64_e32 v[22:23], v[26:27], v[22:23]
	v_fma_f64 v[24:25], v[48:49], s[0:1], -v[60:61]
	v_fma_f64 v[26:27], v[89:90], s[12:13], v[177:178]
	v_fma_f64 v[177:178], v[50:51], s[0:1], v[62:63]
	;; [unrolled: 1-line block ×3, first 2 shown]
	v_fma_f64 v[50:51], v[50:51], s[0:1], -v[62:63]
	v_add_f64_e32 v[38:39], v[229:230], v[38:39]
	v_add_f64_e32 v[109:110], v[223:224], v[109:110]
	v_fma_f64 v[62:63], v[89:90], s[0:1], -v[72:73]
	v_fma_f64 v[72:73], v[89:90], s[0:1], v[72:73]
	v_fma_f64 v[89:90], v[42:43], s[0:1], v[74:75]
	v_add_f64_e32 v[103:104], v[237:238], v[103:104]
	v_fma_f64 v[60:61], v[42:43], s[6:7], v[199:200]
	v_fma_f64 v[199:200], v[42:43], s[6:7], -v[199:200]
	v_fma_f64 v[42:43], v[42:43], s[0:1], -v[74:75]
	v_add_f64_e32 v[56:57], v[56:57], v[213:214]
	v_add_f64_e32 v[101:102], v[135:136], v[101:102]
	;; [unrolled: 1-line block ×8, first 2 shown]
	v_fma_f64 v[237:238], v[46:47], s[12:13], v[129:130]
	v_add_f64_e32 v[87:88], v[225:226], v[87:88]
	v_fma_f64 v[213:214], v[44:45], s[6:7], -v[54:55]
	v_fma_f64 v[193:194], v[46:47], s[6:7], v[151:152]
	v_mul_f64_e32 v[74:75], s[20:21], v[80:81]
	v_mul_f64_e32 v[80:81], s[16:17], v[80:81]
	v_fma_f64 v[149:150], v[46:47], s[14:15], v[171:172]
	v_fma_f64 v[225:226], v[44:45], s[10:11], -v[201:202]
	v_fma_f64 v[201:202], v[44:45], s[10:11], v[201:202]
	v_fma_f64 v[54:55], v[44:45], s[6:7], v[54:55]
	v_mul_f64_e32 v[40:41], s[20:21], v[93:94]
	v_mul_f64_e32 v[157:158], s[34:35], v[91:92]
	;; [unrolled: 1-line block ×4, first 2 shown]
	v_add_f64_e32 v[12:13], v[20:21], v[12:13]
	v_add_f64_e32 v[14:15], v[22:23], v[14:15]
	;; [unrolled: 1-line block ×3, first 2 shown]
	v_fma_f64 v[20:21], v[46:47], s[12:13], -v[129:130]
	v_add_f64_e32 v[177:178], v[177:178], v[221:222]
	v_add_f64_e32 v[16:17], v[48:49], v[16:17]
	;; [unrolled: 1-line block ×5, first 2 shown]
	v_fma_f64 v[233:234], v[44:45], s[0:1], -v[76:77]
	v_fma_f64 v[227:228], v[46:47], s[10:11], v[203:204]
	v_add_f64_e32 v[89:90], v[89:90], v[217:218]
	v_add_f64_e32 v[62:63], v[62:63], v[103:104]
	;; [unrolled: 1-line block ×4, first 2 shown]
	v_fma_f64 v[203:204], v[46:47], s[10:11], -v[203:204]
	v_fma_f64 v[129:130], v[46:47], s[14:15], -v[171:172]
	v_add_f64_e32 v[56:57], v[60:61], v[56:57]
	v_add_f64_e32 v[42:43], v[42:43], v[52:53]
	v_add_f64_e32 v[52:53], v[165:166], v[107:108]
	v_fma_f64 v[44:45], v[44:45], s[0:1], v[76:77]
	v_add_f64_e32 v[60:61], v[197:198], v[99:100]
	v_add_f64_e32 v[36:37], v[123:124], v[36:37]
	v_add_f64_e32 v[76:77], v[125:126], v[111:112]
	v_add_f64_e32 v[99:100], v[141:142], v[113:114]
	v_add_f64_e32 v[72:73], v[72:73], v[105:106]
	v_add_f64_e32 v[30:31], v[195:196], v[30:31]
	v_add_f64_e32 v[58:59], v[199:200], v[58:59]
	v_mul_f64_e32 v[175:176], s[26:27], v[93:94]
	v_mul_f64_e32 v[189:190], s[28:29], v[91:92]
	v_mul_f64_e32 v[191:192], s[28:29], v[93:94]
	v_mul_f64_e32 v[223:224], s[18:19], v[91:92]
	v_mul_f64_e32 v[229:230], s[18:19], v[93:94]
	v_mul_f64_e32 v[91:92], s[16:17], v[91:92]
	v_mul_f64_e32 v[93:94], s[16:17], v[93:94]
	v_fma_f64 v[239:240], v[95:96], s[6:7], -v[131:132]
	v_fma_f64 v[241:242], v[97:98], s[6:7], v[133:134]
	v_add_f64_e32 v[87:88], v[231:232], v[87:88]
	v_fma_f64 v[243:244], v[95:96], s[2:3], -v[143:144]
	v_fma_f64 v[211:212], v[97:98], s[2:3], v[145:146]
	v_add_f64_e32 v[22:23], v[249:250], v[24:25]
	v_add_f64_e32 v[10:11], v[14:15], v[10:11]
	;; [unrolled: 1-line block ×3, first 2 shown]
	v_fma_f64 v[28:29], v[46:47], s[6:7], -v[151:152]
	v_fma_f64 v[151:152], v[46:47], s[2:3], -v[183:184]
	;; [unrolled: 1-line block ×3, first 2 shown]
	v_add_f64_e32 v[78:79], v[139:140], v[101:102]
	v_add_f64_e32 v[101:102], v[167:168], v[117:118]
	;; [unrolled: 1-line block ×7, first 2 shown]
	v_fma_f64 v[85:86], v[95:96], s[14:15], -v[153:154]
	v_fma_f64 v[119:120], v[97:98], s[14:15], v[155:156]
	v_add_f64_e32 v[62:63], v[213:214], v[62:63]
	v_add_f64_e32 v[89:90], v[193:194], v[89:90]
	v_fma_f64 v[26:27], v[95:96], s[0:1], -v[80:81]
	v_fma_f64 v[105:106], v[97:98], s[0:1], v[82:83]
	v_add_f64_e32 v[103:104], v[137:138], v[103:104]
	v_add_f64_e32 v[111:112], v[149:150], v[209:210]
	v_fma_f64 v[48:49], v[95:96], s[10:11], -v[185:186]
	v_fma_f64 v[50:51], v[97:98], s[10:11], v[187:188]
	v_fma_f64 v[113:114], v[97:98], s[12:13], v[207:208]
	v_fma_f64 v[137:138], v[97:98], s[10:11], -v[187:188]
	v_fma_f64 v[80:81], v[95:96], s[0:1], v[80:81]
	v_fma_f64 v[82:83], v[97:98], s[0:1], -v[82:83]
	v_add_f64_e32 v[56:57], v[227:228], v[56:57]
	v_fma_f64 v[171:172], v[95:96], s[12:13], -v[74:75]
	v_fma_f64 v[74:75], v[95:96], s[12:13], v[74:75]
	v_fma_f64 v[131:132], v[95:96], s[6:7], v[131:132]
	;; [unrolled: 1-line block ×3, first 2 shown]
	v_add_f64_e32 v[8:9], v[12:13], v[8:9]
	v_fma_f64 v[12:13], v[95:96], s[14:15], v[153:154]
	v_fma_f64 v[123:124], v[97:98], s[6:7], -v[133:134]
	v_fma_f64 v[125:126], v[97:98], s[2:3], -v[145:146]
	v_add_f64_e32 v[60:61], v[201:202], v[60:61]
	v_add_f64_e32 v[36:37], v[127:128], v[36:37]
	;; [unrolled: 1-line block ×5, first 2 shown]
	v_fma_f64 v[24:25], v[95:96], s[10:11], v[185:186]
	v_add_f64_e32 v[28:29], v[28:29], v[42:43]
	v_add_f64_e32 v[42:43], v[169:170], v[52:53]
	v_add_f64_e32 v[44:45], v[44:45], v[78:79]
	v_add_f64_e32 v[52:53], v[129:130], v[101:102]
	v_add_f64_e32 v[16:17], v[181:182], v[16:17]
	v_add_f64_e32 v[18:19], v[151:152], v[18:19]
	v_add_f64_e32 v[46:47], v[46:47], v[99:100]
	v_add_f64_e32 v[54:55], v[54:55], v[72:73]
	v_fma_f64 v[133:134], v[97:98], s[14:15], -v[155:156]
	v_add_f64_e32 v[30:31], v[225:226], v[30:31]
	v_fma_f64 v[117:118], v[97:98], s[12:13], -v[207:208]
	v_add_f64_e32 v[58:59], v[203:204], v[58:59]
	v_fma_f64 v[72:73], v[34:35], s[0:1], -v[91:92]
	v_fma_f64 v[76:77], v[32:33], s[0:1], v[93:94]
	v_add_f64_e32 v[78:79], v[239:240], v[87:88]
	v_add_f64_e32 v[87:88], v[241:242], v[107:108]
	v_fma_f64 v[221:222], v[34:35], s[12:13], -v[147:148]
	v_fma_f64 v[205:206], v[32:33], s[12:13], v[40:41]
	v_add_f64_e32 v[38:39], v[243:244], v[38:39]
	v_add_f64_e32 v[95:96], v[211:212], v[109:110]
	;; [unrolled: 1-line block ×3, first 2 shown]
	v_fma_f64 v[121:122], v[34:35], s[2:3], -v[157:158]
	v_fma_f64 v[135:136], v[32:33], s[2:3], v[159:160]
	v_add_f64_e32 v[62:63], v[85:86], v[62:63]
	v_add_f64_e32 v[85:86], v[119:120], v[89:90]
	v_fma_f64 v[115:116], v[34:35], s[10:11], -v[173:174]
	v_add_f64_e32 v[26:27], v[26:27], v[103:104]
	v_add_f64_e32 v[89:90], v[105:106], v[111:112]
	v_fma_f64 v[99:100], v[32:33], s[10:11], v[175:176]
	v_fma_f64 v[101:102], v[34:35], s[6:7], -v[189:190]
	v_fma_f64 v[103:104], v[32:33], s[6:7], v[191:192]
	v_fma_f64 v[127:128], v[34:35], s[6:7], v[189:190]
	v_add_f64_e32 v[56:57], v[113:114], v[56:57]
	v_fma_f64 v[113:114], v[32:33], s[6:7], -v[191:192]
	v_add_f64_e32 v[48:49], v[48:49], v[14:15]
	v_fma_f64 v[105:106], v[34:35], s[14:15], -v[223:224]
	v_add_f64_e32 v[50:51], v[50:51], v[22:23]
	v_fma_f64 v[107:108], v[34:35], s[14:15], v[223:224]
	v_fma_f64 v[109:110], v[34:35], s[12:13], v[147:148]
	v_add_f64_e32 v[42:43], v[80:81], v[42:43]
	v_fma_f64 v[111:112], v[34:35], s[2:3], v[157:158]
	v_add_f64_e32 v[52:53], v[82:83], v[52:53]
	v_add_f64_e32 v[80:81], v[24:25], v[16:17]
	;; [unrolled: 1-line block ×3, first 2 shown]
	v_fma_f64 v[119:120], v[34:35], s[10:11], v[173:174]
	v_fma_f64 v[34:35], v[34:35], s[0:1], v[91:92]
	v_add_f64_e32 v[60:61], v[74:75], v[60:61]
	v_add_f64_e32 v[36:37], v[131:132], v[36:37]
	;; [unrolled: 1-line block ×6, first 2 shown]
	v_fma_f64 v[123:124], v[32:33], s[10:11], -v[175:176]
	v_add_f64_e32 v[54:55], v[133:134], v[28:29]
	v_fma_f64 v[125:126], v[32:33], s[2:3], -v[159:160]
	v_fma_f64 v[129:130], v[32:33], s[12:13], -v[40:41]
	;; [unrolled: 1-line block ×3, first 2 shown]
	v_add_f64_e32 v[97:98], v[8:9], v[4:5]
	v_add_f64_e32 v[30:31], v[171:172], v[30:31]
	v_fma_f64 v[131:132], v[32:33], s[14:15], v[229:230]
	v_fma_f64 v[133:134], v[32:33], s[14:15], -v[229:230]
	v_add_f64_e32 v[58:59], v[117:118], v[58:59]
	v_add_f64_e32 v[4:5], v[72:73], v[78:79]
	;; [unrolled: 1-line block ×10, first 2 shown]
	v_lshl_add_u32 v87, v69, 4, 0
	v_add_f64_e32 v[24:25], v[101:102], v[48:49]
	v_lshl_add_u32 v86, v71, 4, 0
	v_add_f64_e32 v[26:27], v[103:104], v[50:51]
	v_cmp_gt_u32_e64 s0, 39, v64
	v_lshl_add_u32 v85, v68, 4, 0
                                        ; implicit-def: $vgpr62_vgpr63
	v_add_f64_e32 v[48:49], v[127:128], v[80:81]
	v_add_f64_e32 v[50:51], v[113:114], v[82:83]
	;; [unrolled: 1-line block ×7, first 2 shown]
	v_mad_u32_u24 v52, 0xc0, v64, v84
	v_add_f64_e32 v[42:43], v[125:126], v[54:55]
	v_add_f64_e32 v[38:39], v[129:130], v[91:92]
	;; [unrolled: 1-line block ×8, first 2 shown]
	ds_store_b128 v52, v[4:7] offset:32
	ds_store_b128 v52, v[8:11] offset:48
	;; [unrolled: 1-line block ×10, first 2 shown]
	ds_store_b128 v52, v[12:15]
	ds_store_b128 v52, v[28:31] offset:16
	ds_store_b128 v52, v[0:3] offset:192
	global_wb scope:SCOPE_SE
	s_wait_dscnt 0x0
	s_barrier_signal -1
	s_barrier_wait -1
	global_inv scope:SCOPE_SE
	ds_load_b128 v[8:11], v84
	ds_load_b128 v[44:47], v84 offset:8112
	ds_load_b128 v[32:35], v84 offset:16224
	;; [unrolled: 1-line block ×3, first 2 shown]
	ds_load_b128 v[12:15], v87
	ds_load_b128 v[4:7], v86
	ds_load_b128 v[36:39], v84 offset:10608
	ds_load_b128 v[20:23], v84 offset:13104
	;; [unrolled: 1-line block ×6, first 2 shown]
                                        ; implicit-def: $vgpr54_vgpr55
                                        ; implicit-def: $vgpr58_vgpr59
	s_and_saveexec_b32 s1, s0
	s_cbranch_execz .LBB0_15
; %bb.14:
	ds_load_b128 v[0:3], v85
	ds_load_b128 v[52:55], v84 offset:15600
	ds_load_b128 v[56:59], v84 offset:23712
	;; [unrolled: 1-line block ×3, first 2 shown]
.LBB0_15:
	s_wait_alu 0xfffe
	s_or_b32 exec_lo, exec_lo, s1
	v_and_b32_e32 v65, 0xff, v64
	v_and_b32_e32 v66, 0xffff, v69
	;; [unrolled: 1-line block ×3, first 2 shown]
	s_delay_alu instid0(VALU_DEP_3) | instskip(NEXT) | instid1(VALU_DEP_3)
	v_mul_lo_u16 v65, 0x4f, v65
	v_mul_u32_u24_e32 v70, 0x4ec5, v66
	v_and_b32_e32 v66, 0xffff, v71
	s_delay_alu instid0(VALU_DEP_4) | instskip(NEXT) | instid1(VALU_DEP_4)
	v_mul_u32_u24_e32 v72, 0x4ec5, v72
	v_lshrrev_b16 v67, 10, v65
	s_delay_alu instid0(VALU_DEP_4) | instskip(NEXT) | instid1(VALU_DEP_4)
	v_lshrrev_b32_e32 v152, 18, v70
	v_mul_u32_u24_e32 v73, 0x4ec5, v66
	s_delay_alu instid0(VALU_DEP_3) | instskip(NEXT) | instid1(VALU_DEP_3)
	v_mul_lo_u16 v74, v67, 13
	v_mul_lo_u16 v75, v152, 13
	s_delay_alu instid0(VALU_DEP_3) | instskip(SKIP_1) | instid1(VALU_DEP_4)
	v_lshrrev_b32_e32 v153, 18, v73
	v_and_b32_e32 v67, 0xffff, v67
	v_sub_nc_u16 v66, v64, v74
	v_lshrrev_b32_e32 v74, 18, v72
	v_sub_nc_u16 v75, v69, v75
	v_mul_lo_u16 v76, v153, 13
	v_mul_u32_u24_e32 v67, 0x340, v67
	v_and_b32_e32 v66, 0xff, v66
	v_mul_lo_u16 v77, v74, 13
	v_and_b32_e32 v154, 0xffff, v75
	v_sub_nc_u16 v75, v71, v76
	s_delay_alu instid0(VALU_DEP_4) | instskip(NEXT) | instid1(VALU_DEP_4)
	v_mul_u32_u24_e32 v78, 3, v66
	v_sub_nc_u16 v76, v68, v77
	s_delay_alu instid0(VALU_DEP_4) | instskip(NEXT) | instid1(VALU_DEP_4)
	v_mul_u32_u24_e32 v89, 3, v154
	v_and_b32_e32 v155, 0xffff, v75
	v_lshlrev_b32_e32 v66, 4, v66
	v_lshlrev_b32_e32 v88, 4, v78
	v_and_b32_e32 v75, 0xffff, v76
	v_lshlrev_b32_e32 v100, 4, v89
	v_mul_u32_u24_e32 v96, 3, v155
	v_add3_u32 v66, 0, v67, v66
	s_clause 0x1
	global_load_b128 v[76:79], v88, s[4:5] offset:16
	global_load_b128 v[80:83], v88, s[4:5]
	v_mul_u32_u24_e32 v108, 3, v75
	s_clause 0x1
	global_load_b128 v[88:91], v88, s[4:5] offset:32
	global_load_b128 v[92:95], v100, s[4:5]
	v_lshlrev_b32_e32 v112, 4, v96
	s_clause 0x2
	global_load_b128 v[96:99], v100, s[4:5] offset:16
	global_load_b128 v[100:103], v100, s[4:5] offset:32
	global_load_b128 v[104:107], v112, s[4:5]
	v_lshlrev_b32_e32 v124, 4, v108
	s_clause 0x4
	global_load_b128 v[108:111], v112, s[4:5] offset:16
	global_load_b128 v[112:115], v112, s[4:5] offset:32
	global_load_b128 v[116:119], v124, s[4:5]
	global_load_b128 v[120:123], v124, s[4:5] offset:16
	global_load_b128 v[124:127], v124, s[4:5] offset:32
	global_wb scope:SCOPE_SE
	s_wait_loadcnt_dscnt 0x0
	s_barrier_signal -1
	s_barrier_wait -1
	global_inv scope:SCOPE_SE
	v_mul_f64_e32 v[130:131], v[34:35], v[78:79]
	v_mul_f64_e32 v[128:129], v[46:47], v[82:83]
	;; [unrolled: 1-line block ×24, first 2 shown]
	v_fma_f64 v[32:33], v[32:33], v[76:77], -v[130:131]
	v_fma_f64 v[44:45], v[44:45], v[80:81], -v[128:129]
	v_fma_f64 v[46:47], v[46:47], v[80:81], v[82:83]
	v_fma_f64 v[34:35], v[34:35], v[76:77], v[78:79]
	v_fma_f64 v[48:49], v[48:49], v[88:89], -v[132:133]
	v_fma_f64 v[50:51], v[50:51], v[88:89], v[90:91]
	v_fma_f64 v[36:37], v[36:37], v[92:93], -v[134:135]
	v_fma_f64 v[38:39], v[38:39], v[92:93], v[94:95]
	v_fma_f64 v[16:17], v[16:17], v[96:97], -v[136:137]
	v_fma_f64 v[18:19], v[18:19], v[96:97], v[98:99]
	v_fma_f64 v[40:41], v[40:41], v[100:101], -v[138:139]
	v_fma_f64 v[42:43], v[42:43], v[100:101], v[102:103]
	v_fma_f64 v[20:21], v[20:21], v[104:105], -v[140:141]
	v_fma_f64 v[22:23], v[22:23], v[104:105], v[106:107]
	v_fma_f64 v[24:25], v[24:25], v[108:109], -v[142:143]
	v_fma_f64 v[26:27], v[26:27], v[108:109], v[110:111]
	v_fma_f64 v[28:29], v[28:29], v[112:113], -v[144:145]
	v_fma_f64 v[30:31], v[30:31], v[112:113], v[114:115]
	v_fma_f64 v[52:53], v[52:53], v[116:117], -v[146:147]
	v_fma_f64 v[54:55], v[54:55], v[116:117], v[118:119]
	v_fma_f64 v[56:57], v[56:57], v[120:121], -v[148:149]
	v_fma_f64 v[58:59], v[58:59], v[120:121], v[122:123]
	v_fma_f64 v[60:61], v[60:61], v[124:125], -v[150:151]
	v_fma_f64 v[62:63], v[62:63], v[124:125], v[126:127]
	v_add_f64_e64 v[76:77], v[8:9], -v[32:33]
	v_add_f64_e64 v[78:79], v[10:11], -v[34:35]
	;; [unrolled: 1-line block ×16, first 2 shown]
	v_fma_f64 v[8:9], v[8:9], 2.0, -v[76:77]
	v_fma_f64 v[10:11], v[10:11], 2.0, -v[78:79]
	;; [unrolled: 1-line block ×4, first 2 shown]
	v_add_f64_e64 v[16:17], v[76:77], -v[34:35]
	v_add_f64_e32 v[18:19], v[78:79], v[32:33]
	v_fma_f64 v[60:61], v[12:13], 2.0, -v[48:49]
	v_fma_f64 v[62:63], v[14:15], 2.0, -v[50:51]
	;; [unrolled: 1-line block ×8, first 2 shown]
	v_add_f64_e64 v[20:21], v[48:49], -v[42:43]
	v_add_f64_e32 v[22:23], v[50:51], v[40:41]
	v_fma_f64 v[0:1], v[0:1], 2.0, -v[92:93]
	v_fma_f64 v[2:3], v[2:3], 2.0, -v[94:95]
	;; [unrolled: 1-line block ×4, first 2 shown]
	v_add_f64_e64 v[32:33], v[80:81], -v[90:91]
	v_add_f64_e32 v[34:35], v[82:83], v[88:89]
	v_add_f64_e64 v[24:25], v[8:9], -v[24:25]
	v_add_f64_e64 v[26:27], v[10:11], -v[26:27]
	v_fma_f64 v[40:41], v[76:77], 2.0, -v[16:17]
	v_fma_f64 v[42:43], v[78:79], 2.0, -v[18:19]
	v_mul_u32_u24_e32 v76, 0x340, v152
	v_lshlrev_b32_e32 v78, 4, v154
	v_add_f64_e64 v[28:29], v[60:61], -v[12:13]
	v_add_f64_e64 v[30:31], v[62:63], -v[14:15]
	;; [unrolled: 1-line block ×3, first 2 shown]
	v_add_f64_e32 v[14:15], v[94:95], v[56:57]
	v_mul_u32_u24_e32 v77, 0x340, v153
	v_lshlrev_b32_e32 v79, 4, v155
	v_add_f64_e64 v[36:37], v[96:97], -v[4:5]
	v_add_f64_e64 v[38:39], v[98:99], -v[6:7]
	v_add3_u32 v67, 0, v76, v78
	s_delay_alu instid0(VALU_DEP_4)
	v_add3_u32 v76, 0, v77, v79
	v_add_f64_e64 v[4:5], v[0:1], -v[44:45]
	v_add_f64_e64 v[6:7], v[2:3], -v[46:47]
	v_fma_f64 v[44:45], v[48:49], 2.0, -v[20:21]
	v_fma_f64 v[46:47], v[50:51], 2.0, -v[22:23]
	v_fma_f64 v[56:57], v[80:81], 2.0, -v[32:33]
	v_fma_f64 v[58:59], v[82:83], 2.0, -v[34:35]
	v_fma_f64 v[48:49], v[8:9], 2.0, -v[24:25]
	v_fma_f64 v[50:51], v[10:11], 2.0, -v[26:27]
	v_fma_f64 v[52:53], v[60:61], 2.0, -v[28:29]
	v_fma_f64 v[54:55], v[62:63], 2.0, -v[30:31]
	v_fma_f64 v[8:9], v[92:93], 2.0, -v[12:13]
	v_fma_f64 v[10:11], v[94:95], 2.0, -v[14:15]
	v_fma_f64 v[60:61], v[96:97], 2.0, -v[36:37]
	v_fma_f64 v[62:63], v[98:99], 2.0, -v[38:39]
	ds_store_b128 v66, v[24:27] offset:416
	ds_store_b128 v66, v[16:19] offset:624
	ds_store_b128 v66, v[48:51]
	ds_store_b128 v66, v[40:43] offset:208
	ds_store_b128 v67, v[52:55]
	ds_store_b128 v67, v[44:47] offset:208
	ds_store_b128 v67, v[28:31] offset:416
	;; [unrolled: 1-line block ×3, first 2 shown]
	ds_store_b128 v76, v[60:63]
	ds_store_b128 v76, v[56:59] offset:208
	ds_store_b128 v76, v[36:39] offset:416
	;; [unrolled: 1-line block ×3, first 2 shown]
	v_fma_f64 v[0:1], v[0:1], 2.0, -v[4:5]
	v_fma_f64 v[2:3], v[2:3], 2.0, -v[6:7]
	s_and_saveexec_b32 s1, s0
	s_cbranch_execz .LBB0_17
; %bb.16:
	v_mul_lo_u16 v16, v74, 52
	v_lshlrev_b32_e32 v17, 4, v75
	s_delay_alu instid0(VALU_DEP_2) | instskip(NEXT) | instid1(VALU_DEP_1)
	v_and_b32_e32 v16, 0xffff, v16
	v_lshlrev_b32_e32 v16, 4, v16
	s_delay_alu instid0(VALU_DEP_1)
	v_add3_u32 v16, 0, v17, v16
	ds_store_b128 v16, v[0:3]
	ds_store_b128 v16, v[8:11] offset:208
	ds_store_b128 v16, v[4:7] offset:416
	;; [unrolled: 1-line block ×3, first 2 shown]
.LBB0_17:
	s_wait_alu 0xfffe
	s_or_b32 exec_lo, exec_lo, s1
	global_wb scope:SCOPE_SE
	s_wait_dscnt 0x0
	s_barrier_signal -1
	s_barrier_wait -1
	global_inv scope:SCOPE_SE
	ds_load_b128 v[32:35], v84 offset:10816
	ds_load_b128 v[28:31], v84 offset:13312
	;; [unrolled: 1-line block ×4, first 2 shown]
	ds_load_b128 v[20:23], v87
	ds_load_b128 v[16:19], v86
	;; [unrolled: 1-line block ×4, first 2 shown]
	ds_load_b128 v[52:55], v84 offset:15808
	ds_load_b128 v[40:43], v84 offset:18304
	;; [unrolled: 1-line block ×4, first 2 shown]
	v_cmp_gt_u32_e64 s0, 52, v64
	s_delay_alu instid0(VALU_DEP_1)
	s_and_saveexec_b32 s1, s0
	s_cbranch_execz .LBB0_19
; %bb.18:
	ds_load_b128 v[0:3], v84 offset:9984
	ds_load_b128 v[8:11], v84 offset:20800
	;; [unrolled: 1-line block ×3, first 2 shown]
.LBB0_19:
	s_wait_alu 0xfffe
	s_or_b32 exec_lo, exec_lo, s1
	v_lshrrev_b16 v65, 12, v65
	v_lshrrev_b32_e32 v66, 20, v70
	v_lshrrev_b32_e32 v67, 20, v73
	;; [unrolled: 1-line block ×3, first 2 shown]
	s_mov_b32 s2, 0xe8584caa
	v_mul_lo_u16 v60, v65, 52
	v_mul_lo_u16 v61, v66, 52
	;; [unrolled: 1-line block ×3, first 2 shown]
	s_mov_b32 s3, 0x3febb67a
	s_mov_b32 s7, 0xbfebb67a
	v_sub_nc_u16 v60, v64, v60
	v_sub_nc_u16 v61, v69, v61
	v_sub_nc_u16 v62, v71, v62
	s_wait_alu 0xfffe
	s_mov_b32 s6, s2
	v_and_b32_e32 v120, 0xff, v60
	v_mul_lo_u16 v60, v70, 52
	v_and_b32_e32 v121, 0xffff, v61
	v_and_b32_e32 v122, 0xffff, v62
	s_delay_alu instid0(VALU_DEP_4) | instskip(NEXT) | instid1(VALU_DEP_4)
	v_lshlrev_b32_e32 v72, 5, v120
	v_sub_nc_u16 v76, v68, v60
	s_delay_alu instid0(VALU_DEP_4) | instskip(NEXT) | instid1(VALU_DEP_4)
	v_lshlrev_b32_e32 v80, 5, v121
	v_lshlrev_b32_e32 v92, 5, v122
	s_clause 0x1
	global_load_b128 v[60:63], v72, s[4:5] offset:624
	global_load_b128 v[72:75], v72, s[4:5] offset:640
	v_and_b32_e32 v123, 0xffff, v76
	s_clause 0x1
	global_load_b128 v[76:79], v80, s[4:5] offset:624
	global_load_b128 v[80:83], v80, s[4:5] offset:640
	v_lshlrev_b32_e32 v100, 5, v123
	s_clause 0x3
	global_load_b128 v[88:91], v92, s[4:5] offset:624
	global_load_b128 v[92:95], v92, s[4:5] offset:640
	;; [unrolled: 1-line block ×4, first 2 shown]
	global_wb scope:SCOPE_SE
	s_wait_loadcnt_dscnt 0x0
	s_barrier_signal -1
	s_barrier_wait -1
	global_inv scope:SCOPE_SE
	v_mul_f64_e32 v[104:105], v[34:35], v[62:63]
	v_mul_f64_e32 v[106:107], v[50:51], v[74:75]
	;; [unrolled: 1-line block ×16, first 2 shown]
	v_fma_f64 v[32:33], v[32:33], v[60:61], -v[104:105]
	v_fma_f64 v[48:49], v[48:49], v[72:73], -v[106:107]
	v_fma_f64 v[34:35], v[34:35], v[60:61], v[62:63]
	v_fma_f64 v[50:51], v[50:51], v[72:73], v[74:75]
	v_fma_f64 v[28:29], v[28:29], v[76:77], -v[108:109]
	v_fma_f64 v[36:37], v[36:37], v[80:81], -v[110:111]
	v_fma_f64 v[30:31], v[30:31], v[76:77], v[78:79]
	v_fma_f64 v[38:39], v[38:39], v[80:81], v[82:83]
	;; [unrolled: 4-line block ×4, first 2 shown]
	v_add_f64_e32 v[88:89], v[24:25], v[32:33]
	v_add_f64_e32 v[60:61], v[32:33], v[48:49]
	v_add_f64_e64 v[104:105], v[32:33], -v[48:49]
	v_add_f64_e32 v[62:63], v[34:35], v[50:51]
	v_add_f64_e64 v[90:91], v[34:35], -v[50:51]
	v_add_f64_e32 v[72:73], v[28:29], v[36:37]
	v_add_f64_e32 v[34:35], v[26:27], v[34:35]
	;; [unrolled: 1-line block ×7, first 2 shown]
	v_add_f64_e64 v[106:107], v[30:31], -v[38:39]
	v_add_f64_e32 v[80:81], v[40:41], v[44:45]
	v_add_f64_e64 v[108:109], v[28:29], -v[36:37]
	v_add_f64_e32 v[82:83], v[42:43], v[46:47]
	v_add_f64_e32 v[96:97], v[16:17], v[52:53]
	;; [unrolled: 1-line block ×5, first 2 shown]
	v_add_f64_e64 v[54:55], v[54:55], -v[58:59]
	v_add_f64_e64 v[52:53], v[52:53], -v[56:57]
	;; [unrolled: 1-line block ×4, first 2 shown]
	v_fma_f64 v[60:61], v[60:61], -0.5, v[24:25]
	v_fma_f64 v[62:63], v[62:63], -0.5, v[26:27]
	;; [unrolled: 1-line block ×5, first 2 shown]
	v_add_f64_e32 v[16:17], v[92:93], v[36:37]
	v_fma_f64 v[78:79], v[78:79], -0.5, v[18:19]
	v_add_f64_e32 v[18:19], v[94:95], v[38:39]
	v_fma_f64 v[80:81], v[80:81], -0.5, v[12:13]
	;; [unrolled: 2-line block ×3, first 2 shown]
	v_add_f64_e32 v[14:15], v[34:35], v[50:51]
	v_add_f64_e32 v[20:21], v[96:97], v[56:57]
	;; [unrolled: 1-line block ×5, first 2 shown]
	v_fma_f64 v[28:29], v[90:91], s[2:3], v[60:61]
	s_wait_alu 0xfffe
	v_fma_f64 v[32:33], v[90:91], s[6:7], v[60:61]
	v_fma_f64 v[30:31], v[104:105], s[6:7], v[62:63]
	;; [unrolled: 1-line block ×15, first 2 shown]
	v_and_b32_e32 v60, 0xffff, v65
	v_lshlrev_b32_e32 v65, 4, v120
	v_mul_u32_u24_e32 v61, 0x9c0, v66
	v_lshlrev_b32_e32 v66, 4, v121
	v_mul_u32_u24_e32 v62, 0x9c0, v67
	v_mul_u32_u24_e32 v60, 0x9c0, v60
	v_mul_u32_u24_e32 v63, 0x9c0, v70
	v_lshlrev_b32_e32 v67, 4, v122
	v_lshlrev_b32_e32 v70, 4, v123
	v_add3_u32 v61, 0, v61, v66
	v_add3_u32 v60, 0, v60, v65
	s_delay_alu instid0(VALU_DEP_4) | instskip(NEXT) | instid1(VALU_DEP_4)
	v_add3_u32 v62, 0, v62, v67
	v_add3_u32 v63, 0, v63, v70
	ds_store_b128 v60, v[12:15]
	ds_store_b128 v60, v[28:31] offset:832
	ds_store_b128 v60, v[32:35] offset:1664
	ds_store_b128 v61, v[16:19]
	ds_store_b128 v61, v[36:39] offset:832
	ds_store_b128 v61, v[40:43] offset:1664
	;; [unrolled: 3-line block ×4, first 2 shown]
	s_and_saveexec_b32 s1, s0
	s_cbranch_execz .LBB0_21
; %bb.20:
	v_add_nc_u32_e32 v12, 0x270, v64
	s_delay_alu instid0(VALU_DEP_1) | instskip(NEXT) | instid1(VALU_DEP_1)
	v_and_b32_e32 v13, 0xffff, v12
	v_mul_u32_u24_e32 v13, 0x4ec5, v13
	s_delay_alu instid0(VALU_DEP_1) | instskip(NEXT) | instid1(VALU_DEP_1)
	v_lshrrev_b32_e32 v13, 20, v13
	v_mul_lo_u16 v13, v13, 52
	s_delay_alu instid0(VALU_DEP_1) | instskip(NEXT) | instid1(VALU_DEP_1)
	v_sub_nc_u16 v12, v12, v13
	v_and_b32_e32 v24, 0xffff, v12
	s_delay_alu instid0(VALU_DEP_1)
	v_lshlrev_b32_e32 v16, 5, v24
	s_clause 0x1
	global_load_b128 v[12:15], v16, s[4:5] offset:624
	global_load_b128 v[16:19], v16, s[4:5] offset:640
	s_wait_loadcnt 0x1
	v_mul_f64_e32 v[20:21], v[8:9], v[14:15]
	s_wait_loadcnt 0x0
	v_mul_f64_e32 v[22:23], v[4:5], v[18:19]
	v_mul_f64_e32 v[14:15], v[10:11], v[14:15]
	;; [unrolled: 1-line block ×3, first 2 shown]
	s_delay_alu instid0(VALU_DEP_4) | instskip(NEXT) | instid1(VALU_DEP_4)
	v_fma_f64 v[10:11], v[10:11], v[12:13], v[20:21]
	v_fma_f64 v[6:7], v[6:7], v[16:17], v[22:23]
	s_delay_alu instid0(VALU_DEP_4) | instskip(NEXT) | instid1(VALU_DEP_4)
	v_fma_f64 v[8:9], v[8:9], v[12:13], -v[14:15]
	v_fma_f64 v[4:5], v[4:5], v[16:17], -v[18:19]
	s_delay_alu instid0(VALU_DEP_4) | instskip(NEXT) | instid1(VALU_DEP_4)
	v_add_f64_e32 v[18:19], v[2:3], v[10:11]
	v_add_f64_e32 v[12:13], v[10:11], v[6:7]
	v_add_f64_e64 v[20:21], v[10:11], -v[6:7]
	s_delay_alu instid0(VALU_DEP_4)
	v_add_f64_e32 v[14:15], v[8:9], v[4:5]
	v_add_f64_e64 v[16:17], v[8:9], -v[4:5]
	v_add_f64_e32 v[8:9], v[0:1], v[8:9]
	v_fma_f64 v[12:13], v[12:13], -0.5, v[2:3]
	v_add_f64_e32 v[2:3], v[18:19], v[6:7]
	v_fma_f64 v[14:15], v[14:15], -0.5, v[0:1]
	s_delay_alu instid0(VALU_DEP_4) | instskip(NEXT) | instid1(VALU_DEP_4)
	v_add_f64_e32 v[0:1], v[8:9], v[4:5]
	v_fma_f64 v[10:11], v[16:17], s[6:7], v[12:13]
	v_fma_f64 v[6:7], v[16:17], s[2:3], v[12:13]
	s_delay_alu instid0(VALU_DEP_4)
	v_fma_f64 v[8:9], v[20:21], s[2:3], v[14:15]
	v_fma_f64 v[4:5], v[20:21], s[6:7], v[14:15]
	v_lshl_add_u32 v12, v24, 4, 0
	ds_store_b128 v12, v[0:3] offset:29952
	ds_store_b128 v12, v[8:11] offset:30784
	;; [unrolled: 1-line block ×3, first 2 shown]
.LBB0_21:
	s_wait_alu 0xfffe
	s_or_b32 exec_lo, exec_lo, s1
	v_mul_u32_u24_e32 v0, 12, v64
	global_wb scope:SCOPE_SE
	s_wait_dscnt 0x0
	s_barrier_signal -1
	s_barrier_wait -1
	global_inv scope:SCOPE_SE
	v_lshlrev_b32_e32 v0, 4, v0
	s_mov_b32 s13, 0xbfddbe06
	s_mov_b32 s12, 0x4267c47c
	;; [unrolled: 1-line block ×4, first 2 shown]
	s_clause 0xb
	global_load_b128 v[20:23], v0, s[4:5] offset:2288
	global_load_b128 v[24:27], v0, s[4:5] offset:2464
	;; [unrolled: 1-line block ×12, first 2 shown]
	ds_load_b128 v[54:57], v87
	ds_load_b128 v[58:61], v84 offset:29952
	ds_load_b128 v[72:75], v86
	ds_load_b128 v[76:79], v84 offset:27456
	;; [unrolled: 2-line block ×3, first 2 shown]
	ds_load_b128 v[92:95], v84 offset:22464
	ds_load_b128 v[96:99], v84 offset:9984
	ds_load_b128 v[0:3], v84
	ds_load_b128 v[100:103], v84 offset:12480
	ds_load_b128 v[104:107], v84 offset:19968
	;; [unrolled: 1-line block ×4, first 2 shown]
	s_mov_b32 s18, 0x24c2f84
	s_mov_b32 s19, 0xbfe5384d
	;; [unrolled: 1-line block ×14, first 2 shown]
	s_wait_alu 0xfffe
	s_mov_b32 s36, s18
	s_mov_b32 s17, 0xbfe7f3cc
	;; [unrolled: 1-line block ×12, first 2 shown]
	global_wb scope:SCOPE_SE
	s_wait_loadcnt_dscnt 0x0
	s_barrier_signal -1
	s_barrier_wait -1
	global_inv scope:SCOPE_SE
	v_mul_f64_e32 v[40:41], v[56:57], v[22:23]
	v_mul_f64_e32 v[22:23], v[54:55], v[22:23]
	;; [unrolled: 1-line block ×24, first 2 shown]
	v_fma_f64 v[146:147], v[54:55], v[20:21], -v[40:41]
	v_fma_f64 v[56:57], v[56:57], v[20:21], v[22:23]
	v_fma_f64 v[38:39], v[72:73], v[28:29], -v[116:117]
	v_fma_f64 v[40:41], v[74:75], v[28:29], v[30:31]
	v_fma_f64 v[14:15], v[78:79], v[32:33], v[118:119]
	v_fma_f64 v[18:19], v[76:77], v[32:33], -v[34:35]
	v_fma_f64 v[20:21], v[90:91], v[42:43], v[124:125]
	v_fma_f64 v[22:23], v[88:89], v[42:43], -v[44:45]
	;; [unrolled: 2-line block ×3, first 2 shown]
	v_fma_f64 v[34:35], v[80:81], v[36:37], -v[120:121]
	v_fma_f64 v[32:33], v[82:83], v[36:37], v[122:123]
	v_fma_f64 v[54:55], v[100:101], v[16:17], -v[130:131]
	v_fma_f64 v[44:45], v[110:111], v[12:13], v[136:137]
	v_fma_f64 v[28:29], v[98:99], v[46:47], v[126:127]
	;; [unrolled: 1-line block ×3, first 2 shown]
	v_fma_f64 v[30:31], v[96:97], v[46:47], -v[48:49]
	v_fma_f64 v[26:27], v[92:93], v[50:51], -v[52:53]
	v_fma_f64 v[52:53], v[102:103], v[16:17], v[132:133]
	v_fma_f64 v[46:47], v[108:109], v[12:13], -v[134:135]
	v_fma_f64 v[16:17], v[114:115], v[4:5], v[142:143]
	v_fma_f64 v[36:37], v[112:113], v[4:5], -v[144:145]
	v_fma_f64 v[12:13], v[106:107], v[8:9], v[138:139]
	v_fma_f64 v[8:9], v[104:105], v[8:9], -v[140:141]
	v_add_f64_e32 v[88:89], v[0:1], v[146:147]
	v_add_f64_e32 v[90:91], v[2:3], v[56:57]
	v_add_f64_e64 v[78:79], v[40:41], -v[14:15]
	v_add_f64_e64 v[76:77], v[38:39], -v[18:19]
	v_add_f64_e32 v[60:61], v[38:39], v[18:19]
	v_add_f64_e32 v[58:59], v[40:41], v[14:15]
	v_add_f64_e64 v[92:93], v[56:57], -v[6:7]
	v_add_f64_e32 v[72:73], v[56:57], v[6:7]
	v_add_f64_e64 v[80:81], v[34:35], -v[22:23]
	v_add_f64_e64 v[82:83], v[32:33], -v[20:21]
	v_add_f64_e32 v[56:57], v[34:35], v[22:23]
	v_add_f64_e32 v[50:51], v[32:33], v[20:21]
	v_add_f64_e64 v[94:95], v[146:147], -v[10:11]
	v_add_f64_e32 v[62:63], v[146:147], v[10:11]
	v_add_f64_e64 v[42:43], v[28:29], -v[24:25]
	v_add_f64_e32 v[48:49], v[28:29], v[24:25]
	v_add_f64_e32 v[4:5], v[30:31], v[26:27]
	v_add_f64_e64 v[74:75], v[30:31], -v[26:27]
	v_add_f64_e64 v[100:101], v[44:45], -v[16:17]
	v_add_f64_e32 v[110:111], v[44:45], v[16:17]
	v_add_f64_e64 v[96:97], v[52:53], -v[12:13]
	v_add_f64_e64 v[98:99], v[54:55], -v[8:9]
	v_add_f64_e32 v[104:105], v[54:55], v[8:9]
	v_add_f64_e32 v[106:107], v[52:53], v[12:13]
	v_add_f64_e64 v[102:103], v[46:47], -v[36:37]
	v_add_f64_e32 v[108:109], v[46:47], v[36:37]
	v_add_f64_e32 v[38:39], v[88:89], v[38:39]
	;; [unrolled: 1-line block ×3, first 2 shown]
	v_mul_f64_e32 v[128:129], s[22:23], v[78:79]
	v_mul_f64_e32 v[132:133], s[14:15], v[78:79]
	;; [unrolled: 1-line block ×17, first 2 shown]
	s_wait_alu 0xfffe
	v_mul_f64_e32 v[140:141], s[36:37], v[78:79]
	v_mul_f64_e32 v[142:143], s[36:37], v[76:77]
	s_mov_b32 s13, 0x3fddbe06
	v_mul_f64_e32 v[144:145], s[26:27], v[78:79]
	v_mul_f64_e32 v[146:147], s[26:27], v[76:77]
	v_mul_f64_e32 v[130:131], s[22:23], v[76:77]
	v_mul_f64_e32 v[164:165], s[18:19], v[82:83]
	s_wait_alu 0xfffe
	v_mul_f64_e32 v[78:79], s[12:13], v[78:79]
	v_mul_f64_e32 v[76:77], s[12:13], v[76:77]
	;; [unrolled: 1-line block ×10, first 2 shown]
	v_add_f64_e32 v[34:35], v[38:39], v[34:35]
	v_add_f64_e32 v[32:33], v[40:41], v[32:33]
	v_mul_f64_e32 v[166:167], s[18:19], v[80:81]
	v_mul_f64_e32 v[82:83], s[12:13], v[82:83]
	;; [unrolled: 1-line block ×3, first 2 shown]
	v_fma_f64 v[232:233], v[60:61], s[6:7], -v[132:133]
	v_fma_f64 v[234:235], v[58:59], s[6:7], v[134:135]
	v_fma_f64 v[236:237], v[60:61], s[20:21], -v[136:137]
	v_fma_f64 v[212:213], v[62:63], s[0:1], -v[88:89]
	v_fma_f64 v[88:89], v[62:63], s[0:1], v[88:89]
	v_fma_f64 v[216:217], v[62:63], s[10:11], -v[112:113]
	v_fma_f64 v[220:221], v[62:63], s[2:3], -v[116:117]
	;; [unrolled: 1-line block ×3, first 2 shown]
	v_fma_f64 v[112:113], v[62:63], s[10:11], v[112:113]
	v_fma_f64 v[218:219], v[72:73], s[10:11], v[114:115]
	;; [unrolled: 1-line block ×4, first 2 shown]
	v_fma_f64 v[228:229], v[62:63], s[16:17], -v[124:125]
	v_fma_f64 v[214:215], v[72:73], s[0:1], v[90:91]
	v_fma_f64 v[90:91], v[72:73], s[0:1], -v[90:91]
	v_fma_f64 v[114:115], v[72:73], s[10:11], -v[114:115]
	v_fma_f64 v[116:117], v[62:63], s[2:3], v[116:117]
	v_fma_f64 v[118:119], v[72:73], s[2:3], -v[118:119]
	v_fma_f64 v[120:121], v[62:63], s[6:7], v[120:121]
	v_fma_f64 v[122:123], v[72:73], s[6:7], -v[122:123]
	v_fma_f64 v[124:125], v[62:63], s[16:17], v[124:125]
	v_fma_f64 v[230:231], v[72:73], s[20:21], v[94:95]
	v_fma_f64 v[238:239], v[58:59], s[20:21], v[138:139]
	v_fma_f64 v[240:241], v[60:61], s[16:17], -v[140:141]
	v_fma_f64 v[242:243], v[58:59], s[16:17], v[142:143]
	v_fma_f64 v[132:133], v[60:61], s[6:7], v[132:133]
	v_fma_f64 v[244:245], v[60:61], s[2:3], -v[144:145]
	v_fma_f64 v[246:247], v[58:59], s[2:3], v[146:147]
	v_fma_f64 v[136:137], v[60:61], s[20:21], v[136:137]
	;; [unrolled: 1-line block ×4, first 2 shown]
	v_fma_f64 v[134:135], v[58:59], s[6:7], -v[134:135]
	v_fma_f64 v[138:139], v[58:59], s[20:21], -v[138:139]
	v_add_f64_e32 v[30:31], v[34:35], v[30:31]
	v_add_f64_e32 v[28:29], v[32:33], v[28:29]
	v_fma_f64 v[34:35], v[72:73], s[16:17], v[126:127]
	v_fma_f64 v[126:127], v[72:73], s[16:17], -v[126:127]
	v_fma_f64 v[32:33], v[62:63], s[20:21], -v[92:93]
	v_fma_f64 v[62:63], v[62:63], s[20:21], v[92:93]
	v_fma_f64 v[72:73], v[72:73], s[20:21], -v[94:95]
	v_fma_f64 v[92:93], v[60:61], s[10:11], -v[128:129]
	v_fma_f64 v[128:129], v[60:61], s[10:11], v[128:129]
	v_add_f64_e32 v[212:213], v[0:1], v[212:213]
	v_add_f64_e32 v[88:89], v[0:1], v[88:89]
	;; [unrolled: 1-line block ×19, first 2 shown]
	v_fma_f64 v[94:95], v[58:59], s[10:11], v[130:131]
	v_fma_f64 v[130:131], v[58:59], s[10:11], -v[130:131]
	v_fma_f64 v[142:143], v[58:59], s[16:17], -v[142:143]
	;; [unrolled: 1-line block ×3, first 2 shown]
	v_mul_f64_e32 v[168:169], s[14:15], v[42:43]
	v_mul_f64_e32 v[170:171], s[36:37], v[42:43]
	;; [unrolled: 1-line block ×6, first 2 shown]
	v_add_f64_e32 v[30:31], v[30:31], v[54:55]
	v_add_f64_e32 v[28:29], v[28:29], v[52:53]
	;; [unrolled: 1-line block ×7, first 2 shown]
	v_fma_f64 v[62:63], v[56:57], s[16:17], -v[164:165]
	v_fma_f64 v[72:73], v[56:57], s[16:17], v[164:165]
	v_fma_f64 v[164:165], v[60:61], s[0:1], -v[78:79]
	v_fma_f64 v[60:61], v[60:61], s[0:1], v[78:79]
	v_fma_f64 v[78:79], v[58:59], s[0:1], v[76:77]
	v_fma_f64 v[58:59], v[58:59], s[0:1], -v[76:77]
	v_mul_f64_e32 v[180:181], s[36:37], v[74:75]
	v_mul_f64_e32 v[182:183], s[24:25], v[74:75]
	;; [unrolled: 1-line block ×4, first 2 shown]
	v_fma_f64 v[248:249], v[56:57], s[2:3], -v[148:149]
	v_fma_f64 v[148:149], v[56:57], s[2:3], v[148:149]
	v_fma_f64 v[252:253], v[56:57], s[20:21], -v[152:153]
	v_fma_f64 v[254:255], v[50:51], s[20:21], v[154:155]
	v_add_f64_e32 v[92:93], v[92:93], v[212:213]
	v_add_f64_e32 v[88:89], v[128:129], v[88:89]
	v_add_f64_e32 v[216:217], v[232:233], v[216:217]
	v_add_f64_e32 v[218:219], v[234:235], v[218:219]
	v_mul_f64_e32 v[42:43], s[12:13], v[42:43]
	v_mul_f64_e32 v[74:75], s[12:13], v[74:75]
	v_fma_f64 v[65:66], v[56:57], s[6:7], -v[156:157]
	v_fma_f64 v[54:55], v[50:51], s[6:7], v[158:159]
	v_add_f64_e32 v[220:221], v[236:237], v[220:221]
	v_add_f64_e32 v[222:223], v[238:239], v[222:223]
	v_fma_f64 v[76:77], v[56:57], s[0:1], -v[82:83]
	v_add_f64_e32 v[224:225], v[240:241], v[224:225]
	v_add_f64_e32 v[226:227], v[242:243], v[226:227]
	v_fma_f64 v[152:153], v[56:57], s[20:21], v[152:153]
	v_fma_f64 v[156:157], v[56:57], s[6:7], v[156:157]
	v_fma_f64 v[52:53], v[56:57], s[10:11], -v[160:161]
	v_fma_f64 v[160:161], v[56:57], s[10:11], v[160:161]
	v_add_f64_e32 v[30:31], v[30:31], v[46:47]
	v_add_f64_e32 v[28:29], v[28:29], v[44:45]
	v_fma_f64 v[44:45], v[50:51], s[0:1], v[80:81]
	v_fma_f64 v[56:57], v[56:57], s[0:1], v[82:83]
	;; [unrolled: 1-line block ×3, first 2 shown]
	v_add_f64_e32 v[112:113], v[132:133], v[112:113]
	v_add_f64_e32 v[228:229], v[244:245], v[228:229]
	;; [unrolled: 1-line block ×3, first 2 shown]
	v_fma_f64 v[46:47], v[50:51], s[16:17], v[166:167]
	v_add_f64_e32 v[124:125], v[144:145], v[124:125]
	v_add_f64_e32 v[32:33], v[164:165], v[32:33]
	;; [unrolled: 1-line block ×3, first 2 shown]
	v_fma_f64 v[166:167], v[50:51], s[16:17], -v[166:167]
	v_add_f64_e32 v[0:1], v[60:61], v[0:1]
	v_add_f64_e32 v[2:3], v[58:59], v[2:3]
	v_fma_f64 v[162:163], v[50:51], s[10:11], -v[162:163]
	v_add_f64_e32 v[126:127], v[146:147], v[126:127]
	v_fma_f64 v[250:251], v[50:51], s[2:3], v[150:151]
	v_fma_f64 v[150:151], v[50:51], s[2:3], -v[150:151]
	v_fma_f64 v[154:155], v[50:51], s[20:21], -v[154:155]
	;; [unrolled: 1-line block ×4, first 2 shown]
	v_add_f64_e32 v[120:121], v[140:141], v[120:121]
	v_add_f64_e32 v[122:123], v[142:143], v[122:123]
	;; [unrolled: 1-line block ×7, first 2 shown]
	v_mul_f64_e32 v[40:41], s[26:27], v[96:97]
	v_mul_f64_e32 v[190:191], s[26:27], v[98:99]
	v_fma_f64 v[132:133], v[4:5], s[6:7], -v[168:169]
	v_fma_f64 v[168:169], v[4:5], s[6:7], v[168:169]
	v_fma_f64 v[236:237], v[4:5], s[16:17], -v[170:171]
	v_fma_f64 v[170:171], v[4:5], s[16:17], v[170:171]
	;; [unrolled: 2-line block ×3, first 2 shown]
	v_fma_f64 v[136:137], v[4:5], s[20:21], -v[174:175]
	v_add_f64_e32 v[30:31], v[30:31], v[36:37]
	v_add_f64_e32 v[16:17], v[28:29], v[16:17]
	v_fma_f64 v[174:175], v[4:5], s[20:21], v[174:175]
	v_fma_f64 v[240:241], v[4:5], s[10:11], -v[176:177]
	v_fma_f64 v[176:177], v[4:5], s[10:11], v[176:177]
	v_fma_f64 v[36:37], v[48:49], s[6:7], v[178:179]
	v_fma_f64 v[178:179], v[48:49], s[6:7], -v[178:179]
	v_fma_f64 v[28:29], v[48:49], s[16:17], v[180:181]
	v_fma_f64 v[180:181], v[48:49], s[16:17], -v[180:181]
	;; [unrolled: 2-line block ×5, first 2 shown]
	v_fma_f64 v[214:215], v[4:5], s[0:1], -v[42:43]
	v_fma_f64 v[4:5], v[4:5], s[0:1], v[42:43]
	v_fma_f64 v[42:43], v[48:49], s[0:1], v[74:75]
	v_fma_f64 v[48:49], v[48:49], s[0:1], -v[74:75]
	v_add_f64_e32 v[74:75], v[248:249], v[92:93]
	v_add_f64_e32 v[88:89], v[148:149], v[88:89]
	;; [unrolled: 1-line block ×4, first 2 shown]
	v_mul_f64_e32 v[192:193], s[22:23], v[96:97]
	v_mul_f64_e32 v[194:195], s[22:23], v[98:99]
	v_add_f64_e32 v[65:66], v[65:66], v[220:221]
	v_add_f64_e32 v[54:55], v[54:55], v[222:223]
	v_mul_f64_e32 v[196:197], s[34:35], v[96:97]
	v_mul_f64_e32 v[198:199], s[34:35], v[98:99]
	v_add_f64_e32 v[76:77], v[76:77], v[224:225]
	v_add_f64_e32 v[44:45], v[44:45], v[226:227]
	v_mul_f64_e32 v[186:187], s[18:19], v[96:97]
	v_mul_f64_e32 v[188:189], s[18:19], v[98:99]
	;; [unrolled: 1-line block ×6, first 2 shown]
	v_add_f64_e32 v[112:113], v[152:153], v[112:113]
	v_add_f64_e32 v[8:9], v[30:31], v[8:9]
	;; [unrolled: 1-line block ×18, first 2 shown]
	v_mul_f64_e32 v[204:205], s[30:31], v[100:101]
	v_mul_f64_e32 v[206:207], s[30:31], v[102:103]
	;; [unrolled: 1-line block ×12, first 2 shown]
	v_fma_f64 v[144:145], v[104:105], s[2:3], -v[40:41]
	v_fma_f64 v[146:147], v[106:107], s[2:3], v[190:191]
	v_add_f64_e32 v[92:93], v[236:237], v[92:93]
	v_add_f64_e32 v[28:29], v[28:29], v[148:149]
	v_fma_f64 v[164:165], v[104:105], s[10:11], -v[192:193]
	v_fma_f64 v[230:231], v[106:107], s[10:11], v[194:195]
	v_add_f64_e32 v[65:66], v[214:215], v[65:66]
	v_add_f64_e32 v[42:43], v[42:43], v[54:55]
	v_fma_f64 v[60:61], v[104:105], s[20:21], -v[196:197]
	v_add_f64_e32 v[8:9], v[8:9], v[26:27]
	v_add_f64_e32 v[12:13], v[12:13], v[24:25]
	v_fma_f64 v[58:59], v[106:107], s[20:21], v[198:199]
	v_add_f64_e32 v[54:55], v[238:239], v[76:77]
	v_add_f64_e32 v[44:45], v[242:243], v[44:45]
	v_fma_f64 v[244:245], v[104:105], s[16:17], -v[186:187]
	v_fma_f64 v[186:187], v[104:105], s[16:17], v[186:187]
	v_fma_f64 v[40:41], v[104:105], s[2:3], v[40:41]
	;; [unrolled: 1-line block ×4, first 2 shown]
	v_fma_f64 v[16:17], v[104:105], s[6:7], -v[200:201]
	v_fma_f64 v[134:135], v[104:105], s[6:7], v[200:201]
	v_fma_f64 v[126:127], v[104:105], s[0:1], -v[96:97]
	v_fma_f64 v[150:151], v[106:107], s[0:1], v[98:99]
	v_fma_f64 v[96:97], v[104:105], s[0:1], v[96:97]
	v_add_f64_e32 v[104:105], v[170:171], v[112:113]
	v_add_f64_e32 v[52:53], v[136:137], v[52:53]
	;; [unrolled: 1-line block ×3, first 2 shown]
	v_fma_f64 v[30:31], v[106:107], s[6:7], v[202:203]
	v_add_f64_e32 v[76:77], v[174:175], v[82:83]
	v_add_f64_e32 v[32:33], v[240:241], v[32:33]
	;; [unrolled: 1-line block ×3, first 2 shown]
	v_fma_f64 v[138:139], v[106:107], s[6:7], -v[202:203]
	v_add_f64_e32 v[0:1], v[176:177], v[0:1]
	v_add_f64_e32 v[2:3], v[38:39], v[2:3]
	v_fma_f64 v[98:99], v[106:107], s[0:1], -v[98:99]
	v_add_f64_e32 v[38:39], v[184:185], v[62:63]
	v_fma_f64 v[198:199], v[106:107], s[20:21], -v[198:199]
	v_add_f64_e32 v[56:57], v[172:173], v[56:57]
	v_add_f64_e32 v[50:51], v[182:183], v[50:51]
	v_fma_f64 v[194:195], v[106:107], s[10:11], -v[194:195]
	v_add_f64_e32 v[4:5], v[4:5], v[116:117]
	;; [unrolled: 3-line block ×3, first 2 shown]
	v_fma_f64 v[246:247], v[106:107], s[16:17], v[188:189]
	v_fma_f64 v[188:189], v[106:107], s[16:17], -v[188:189]
	v_add_f64_e32 v[88:89], v[168:169], v[88:89]
	v_add_f64_e32 v[90:91], v[178:179], v[90:91]
	;; [unrolled: 1-line block ×6, first 2 shown]
	v_fma_f64 v[22:23], v[108:109], s[6:7], -v[128:129]
	v_fma_f64 v[78:79], v[108:109], s[6:7], v[128:129]
	v_fma_f64 v[20:21], v[108:109], s[0:1], -v[100:101]
	v_fma_f64 v[128:129], v[110:111], s[0:1], v[102:103]
	v_add_f64_e32 v[92:93], v[144:145], v[92:93]
	v_add_f64_e32 v[28:29], v[146:147], v[28:29]
	v_fma_f64 v[24:25], v[108:109], s[16:17], -v[208:209]
	v_fma_f64 v[26:27], v[110:111], s[16:17], v[210:211]
	v_add_f64_e32 v[65:66], v[164:165], v[65:66]
	v_add_f64_e32 v[42:43], v[230:231], v[42:43]
	;; [unrolled: 4-line block ×3, first 2 shown]
	v_fma_f64 v[72:73], v[110:111], s[6:7], v[130:131]
	v_fma_f64 v[100:101], v[108:109], s[0:1], v[100:101]
	v_add_f64_e32 v[40:41], v[40:41], v[104:105]
	v_add_f64_e32 v[52:53], v[126:127], v[52:53]
	;; [unrolled: 1-line block ×3, first 2 shown]
	v_fma_f64 v[94:95], v[108:109], s[2:3], -v[232:233]
	v_fma_f64 v[106:107], v[110:111], s[2:3], v[234:235]
	v_add_f64_e32 v[60:61], v[96:97], v[76:77]
	v_add_f64_e32 v[76:77], v[16:17], v[32:33]
	;; [unrolled: 1-line block ×3, first 2 shown]
	v_fma_f64 v[112:113], v[108:109], s[2:3], v[232:233]
	v_fma_f64 v[116:117], v[110:111], s[2:3], -v[234:235]
	v_add_f64_e32 v[46:47], v[134:135], v[0:1]
	v_add_f64_e32 v[2:3], v[138:139], v[2:3]
	v_fma_f64 v[82:83], v[110:111], s[6:7], -v[130:131]
	v_add_f64_e32 v[38:39], v[98:99], v[38:39]
	v_fma_f64 v[80:81], v[108:109], s[10:11], v[80:81]
	v_fma_f64 v[124:125], v[110:111], s[10:11], -v[212:213]
	v_add_f64_e32 v[56:57], v[196:197], v[56:57]
	v_add_f64_e32 v[96:97], v[198:199], v[50:51]
	v_fma_f64 v[114:115], v[108:109], s[16:17], v[208:209]
	v_fma_f64 v[118:119], v[110:111], s[16:17], -v[210:211]
	v_add_f64_e32 v[4:5], v[192:193], v[4:5]
	v_add_f64_e32 v[98:99], v[194:195], v[48:49]
	v_fma_f64 v[102:103], v[110:111], s[0:1], -v[102:103]
	v_add_f64_e32 v[62:63], v[190:191], v[62:63]
	v_fma_f64 v[200:201], v[108:109], s[20:21], -v[204:205]
	v_fma_f64 v[202:203], v[110:111], s[20:21], v[206:207]
	v_fma_f64 v[204:205], v[108:109], s[20:21], v[204:205]
	v_fma_f64 v[206:207], v[110:111], s[20:21], -v[206:207]
	v_add_f64_e32 v[88:89], v[186:187], v[88:89]
	v_add_f64_e32 v[90:91], v[188:189], v[90:91]
	v_add_f64_e32 v[74:75], v[244:245], v[74:75]
	v_add_f64_e32 v[104:105], v[246:247], v[36:37]
	v_add_f64_e32 v[8:9], v[8:9], v[18:19]
	v_add_f64_e32 v[108:109], v[12:13], v[14:15]
	v_add_f64_e32 v[16:17], v[20:21], v[92:93]
	v_add_f64_e32 v[18:19], v[128:129], v[28:29]
	v_add_f64_e32 v[24:25], v[24:25], v[65:66]
	v_add_f64_e32 v[26:27], v[26:27], v[42:43]
	v_add_f64_e32 v[32:33], v[120:121], v[54:55]
	v_add_f64_e32 v[34:35], v[122:123], v[44:45]
	v_add_f64_e32 v[20:21], v[100:101], v[40:41]
	v_add_f64_e32 v[40:41], v[22:23], v[52:53]
	v_add_f64_e32 v[42:43], v[72:73], v[58:59]
	v_add_f64_e32 v[44:45], v[78:79], v[60:61]
	v_add_f64_e32 v[48:49], v[94:95], v[76:77]
	v_add_f64_e32 v[50:51], v[106:107], v[30:31]
	s_mov_b32 s1, exec_lo
	v_add_f64_e32 v[52:53], v[112:113], v[46:47]
	v_add_f64_e32 v[54:55], v[116:117], v[2:3]
	;; [unrolled: 1-line block ×14, first 2 shown]
                                        ; implicit-def: $vgpr10_vgpr11
                                        ; implicit-def: $vgpr8_vgpr9
	ds_store_b128 v84, v[16:19] offset:4992
	ds_store_b128 v84, v[24:27] offset:7488
	;; [unrolled: 1-line block ×12, first 2 shown]
	ds_store_b128 v84, v[4:7]
	global_wb scope:SCOPE_SE
	s_wait_dscnt 0x0
	s_barrier_signal -1
	s_barrier_wait -1
	global_inv scope:SCOPE_SE
	ds_load_b128 v[4:7], v84
	v_lshlrev_b32_e32 v0, 4, v64
                                        ; implicit-def: $vgpr2_vgpr3
	s_delay_alu instid0(VALU_DEP_1)
	v_sub_nc_u32_e32 v12, 0, v0
	v_cmpx_ne_u32_e32 0, v64
	s_wait_alu 0xfffe
	s_xor_b32 s1, exec_lo, s1
	s_cbranch_execz .LBB0_23
; %bb.22:
	v_mov_b32_e32 v65, 0
	s_delay_alu instid0(VALU_DEP_1) | instskip(NEXT) | instid1(VALU_DEP_1)
	v_lshlrev_b64_e32 v[0:1], 4, v[64:65]
	v_add_co_u32 v0, s0, s4, v0
	s_wait_alu 0xf1ff
	s_delay_alu instid0(VALU_DEP_2)
	v_add_co_ci_u32_e64 v1, s0, s5, v1, s0
	global_load_b128 v[8:11], v[0:1], off offset:32240
	ds_load_b128 v[0:3], v12 offset:32448
	s_wait_dscnt 0x0
	v_add_f64_e64 v[13:14], v[4:5], -v[0:1]
	v_add_f64_e32 v[15:16], v[6:7], v[2:3]
	v_add_f64_e64 v[2:3], v[6:7], -v[2:3]
	v_add_f64_e32 v[0:1], v[4:5], v[0:1]
	s_delay_alu instid0(VALU_DEP_4) | instskip(NEXT) | instid1(VALU_DEP_4)
	v_mul_f64_e32 v[6:7], 0.5, v[13:14]
	v_mul_f64_e32 v[4:5], 0.5, v[15:16]
	s_delay_alu instid0(VALU_DEP_4) | instskip(SKIP_1) | instid1(VALU_DEP_3)
	v_mul_f64_e32 v[2:3], 0.5, v[2:3]
	s_wait_loadcnt 0x0
	v_mul_f64_e32 v[13:14], v[6:7], v[10:11]
	s_delay_alu instid0(VALU_DEP_2) | instskip(SKIP_1) | instid1(VALU_DEP_3)
	v_fma_f64 v[15:16], v[4:5], v[10:11], v[2:3]
	v_fma_f64 v[2:3], v[4:5], v[10:11], -v[2:3]
	v_fma_f64 v[17:18], v[0:1], 0.5, v[13:14]
	v_fma_f64 v[0:1], v[0:1], 0.5, -v[13:14]
	s_delay_alu instid0(VALU_DEP_4) | instskip(NEXT) | instid1(VALU_DEP_4)
	v_fma_f64 v[10:11], -v[8:9], v[6:7], v[15:16]
	v_fma_f64 v[2:3], -v[8:9], v[6:7], v[2:3]
	s_delay_alu instid0(VALU_DEP_4) | instskip(NEXT) | instid1(VALU_DEP_4)
	v_fma_f64 v[13:14], v[4:5], v[8:9], v[17:18]
	v_fma_f64 v[0:1], -v[4:5], v[8:9], v[0:1]
	v_dual_mov_b32 v8, v64 :: v_dual_mov_b32 v9, v65
                                        ; implicit-def: $vgpr4_vgpr5
	ds_store_b64 v84, v[13:14]
.LBB0_23:
	s_wait_alu 0xfffe
	s_and_not1_saveexec_b32 s0, s1
	s_cbranch_execz .LBB0_25
; %bb.24:
	s_wait_dscnt 0x0
	v_add_f64_e32 v[13:14], v[4:5], v[6:7]
	v_add_f64_e64 v[0:1], v[4:5], -v[6:7]
	v_mov_b32_e32 v6, 0
	v_mov_b32_e32 v10, 0
	v_dual_mov_b32 v11, 0 :: v_dual_mov_b32 v8, 0
	s_delay_alu instid0(VALU_DEP_2)
	v_mov_b32_e32 v2, v10
	ds_load_b64 v[4:5], v6 offset:16232
	v_mov_b32_e32 v9, 0
	v_mov_b32_e32 v3, v11
	s_wait_dscnt 0x0
	v_xor_b32_e32 v5, 0x80000000, v5
	ds_store_b64 v84, v[13:14]
	ds_store_b64 v6, v[4:5] offset:16232
.LBB0_25:
	s_wait_alu 0xfffe
	s_or_b32 exec_lo, exec_lo, s0
	v_mov_b32_e32 v70, 0
	s_wait_dscnt 0x0
	s_delay_alu instid0(VALU_DEP_1) | instskip(SKIP_1) | instid1(VALU_DEP_1)
	v_lshlrev_b64_e32 v[4:5], 4, v[69:70]
	v_dual_mov_b32 v72, v70 :: v_dual_mov_b32 v69, v70
	v_lshlrev_b64_e32 v[13:14], 4, v[71:72]
	s_delay_alu instid0(VALU_DEP_3) | instskip(SKIP_1) | instid1(VALU_DEP_4)
	v_add_co_u32 v4, s0, s4, v4
	s_wait_alu 0xf1ff
	v_add_co_ci_u32_e64 v5, s0, s5, v5, s0
	s_delay_alu instid0(VALU_DEP_3)
	v_add_co_u32 v13, s0, s4, v13
	global_load_b128 v[4:7], v[4:5], off offset:32240
	s_wait_alu 0xf1ff
	v_add_co_ci_u32_e64 v14, s0, s5, v14, s0
	global_load_b128 v[13:16], v[13:14], off offset:32240
	ds_store_b64 v84, v[10:11] offset:8
	ds_store_b128 v12, v[0:3] offset:32448
	ds_load_b128 v[0:3], v87
	ds_load_b128 v[17:20], v12 offset:29952
	s_wait_dscnt 0x0
	v_add_f64_e64 v[10:11], v[0:1], -v[17:18]
	v_add_f64_e32 v[21:22], v[2:3], v[19:20]
	v_add_f64_e64 v[2:3], v[2:3], -v[19:20]
	v_add_f64_e32 v[0:1], v[0:1], v[17:18]
	s_delay_alu instid0(VALU_DEP_4) | instskip(NEXT) | instid1(VALU_DEP_4)
	v_mul_f64_e32 v[10:11], 0.5, v[10:11]
	v_mul_f64_e32 v[19:20], 0.5, v[21:22]
	s_delay_alu instid0(VALU_DEP_4) | instskip(SKIP_1) | instid1(VALU_DEP_3)
	v_mul_f64_e32 v[2:3], 0.5, v[2:3]
	s_wait_loadcnt 0x1
	v_mul_f64_e32 v[17:18], v[10:11], v[6:7]
	s_delay_alu instid0(VALU_DEP_2) | instskip(SKIP_1) | instid1(VALU_DEP_3)
	v_fma_f64 v[21:22], v[19:20], v[6:7], v[2:3]
	v_fma_f64 v[6:7], v[19:20], v[6:7], -v[2:3]
	v_fma_f64 v[23:24], v[0:1], 0.5, v[17:18]
	v_fma_f64 v[17:18], v[0:1], 0.5, -v[17:18]
	s_delay_alu instid0(VALU_DEP_4) | instskip(NEXT) | instid1(VALU_DEP_4)
	v_fma_f64 v[2:3], -v[4:5], v[10:11], v[21:22]
	v_fma_f64 v[6:7], -v[4:5], v[10:11], v[6:7]
	v_lshlrev_b64_e32 v[10:11], 4, v[68:69]
	s_delay_alu instid0(VALU_DEP_1) | instskip(SKIP_1) | instid1(VALU_DEP_2)
	v_add_co_u32 v10, s0, s4, v10
	s_wait_alu 0xf1ff
	v_add_co_ci_u32_e64 v11, s0, s5, v11, s0
	s_add_nc_u64 s[0:1], s[4:5], 0x7df0
	v_fma_f64 v[0:1], v[19:20], v[4:5], v[23:24]
	v_fma_f64 v[4:5], -v[19:20], v[4:5], v[17:18]
	global_load_b128 v[17:20], v[10:11], off offset:32240
	ds_store_b128 v87, v[0:3]
	ds_store_b128 v12, v[4:7] offset:29952
	ds_load_b128 v[0:3], v86
	ds_load_b128 v[4:7], v12 offset:27456
	s_wait_dscnt 0x0
	v_add_f64_e64 v[10:11], v[0:1], -v[4:5]
	v_add_f64_e32 v[21:22], v[2:3], v[6:7]
	v_add_f64_e64 v[2:3], v[2:3], -v[6:7]
	v_add_f64_e32 v[0:1], v[0:1], v[4:5]
	s_delay_alu instid0(VALU_DEP_4) | instskip(NEXT) | instid1(VALU_DEP_4)
	v_mul_f64_e32 v[10:11], 0.5, v[10:11]
	v_mul_f64_e32 v[21:22], 0.5, v[21:22]
	s_delay_alu instid0(VALU_DEP_4) | instskip(SKIP_1) | instid1(VALU_DEP_3)
	v_mul_f64_e32 v[2:3], 0.5, v[2:3]
	s_wait_loadcnt 0x1
	v_mul_f64_e32 v[4:5], v[10:11], v[15:16]
	s_delay_alu instid0(VALU_DEP_2) | instskip(SKIP_1) | instid1(VALU_DEP_3)
	v_fma_f64 v[6:7], v[21:22], v[15:16], v[2:3]
	v_fma_f64 v[2:3], v[21:22], v[15:16], -v[2:3]
	v_fma_f64 v[23:24], v[0:1], 0.5, v[4:5]
	v_fma_f64 v[0:1], v[0:1], 0.5, -v[4:5]
	s_delay_alu instid0(VALU_DEP_4) | instskip(NEXT) | instid1(VALU_DEP_4)
	v_fma_f64 v[6:7], -v[13:14], v[10:11], v[6:7]
	v_fma_f64 v[15:16], -v[13:14], v[10:11], v[2:3]
	s_delay_alu instid0(VALU_DEP_4) | instskip(NEXT) | instid1(VALU_DEP_4)
	v_fma_f64 v[4:5], v[21:22], v[13:14], v[23:24]
	v_fma_f64 v[13:14], -v[21:22], v[13:14], v[0:1]
	v_lshlrev_b64_e32 v[0:1], 4, v[8:9]
	s_wait_alu 0xfffe
	s_delay_alu instid0(VALU_DEP_1) | instskip(SKIP_1) | instid1(VALU_DEP_2)
	v_add_co_u32 v2, s0, s0, v0
	s_wait_alu 0xf1ff
	v_add_co_ci_u32_e64 v3, s0, s1, v1, s0
	s_mov_b32 s1, exec_lo
	global_load_b128 v[8:11], v[2:3], off offset:9984
	ds_store_b128 v86, v[4:7]
	ds_store_b128 v12, v[13:16] offset:27456
	ds_load_b128 v[4:7], v85
	ds_load_b128 v[13:16], v12 offset:24960
	s_wait_dscnt 0x0
	v_add_f64_e64 v[21:22], v[4:5], -v[13:14]
	v_add_f64_e32 v[23:24], v[6:7], v[15:16]
	v_add_f64_e64 v[6:7], v[6:7], -v[15:16]
	v_add_f64_e32 v[4:5], v[4:5], v[13:14]
	s_delay_alu instid0(VALU_DEP_4) | instskip(NEXT) | instid1(VALU_DEP_4)
	v_mul_f64_e32 v[15:16], 0.5, v[21:22]
	v_mul_f64_e32 v[21:22], 0.5, v[23:24]
	s_delay_alu instid0(VALU_DEP_4) | instskip(SKIP_1) | instid1(VALU_DEP_3)
	v_mul_f64_e32 v[6:7], 0.5, v[6:7]
	s_wait_loadcnt 0x1
	v_mul_f64_e32 v[13:14], v[15:16], v[19:20]
	s_delay_alu instid0(VALU_DEP_2) | instskip(SKIP_1) | instid1(VALU_DEP_3)
	v_fma_f64 v[23:24], v[21:22], v[19:20], v[6:7]
	v_fma_f64 v[19:20], v[21:22], v[19:20], -v[6:7]
	v_fma_f64 v[25:26], v[4:5], 0.5, v[13:14]
	v_fma_f64 v[13:14], v[4:5], 0.5, -v[13:14]
	s_delay_alu instid0(VALU_DEP_4) | instskip(NEXT) | instid1(VALU_DEP_4)
	v_fma_f64 v[6:7], -v[17:18], v[15:16], v[23:24]
	v_fma_f64 v[15:16], -v[17:18], v[15:16], v[19:20]
	s_delay_alu instid0(VALU_DEP_4) | instskip(NEXT) | instid1(VALU_DEP_4)
	v_fma_f64 v[4:5], v[21:22], v[17:18], v[25:26]
	v_fma_f64 v[13:14], -v[21:22], v[17:18], v[13:14]
	global_load_b128 v[17:20], v[2:3], off offset:12480
	ds_store_b128 v85, v[4:7]
	ds_store_b128 v12, v[13:16] offset:24960
	ds_load_b128 v[4:7], v84 offset:9984
	ds_load_b128 v[13:16], v12 offset:22464
	s_wait_dscnt 0x0
	v_add_f64_e64 v[21:22], v[4:5], -v[13:14]
	v_add_f64_e32 v[23:24], v[6:7], v[15:16]
	v_add_f64_e64 v[6:7], v[6:7], -v[15:16]
	v_add_f64_e32 v[4:5], v[4:5], v[13:14]
	s_delay_alu instid0(VALU_DEP_4) | instskip(NEXT) | instid1(VALU_DEP_4)
	v_mul_f64_e32 v[15:16], 0.5, v[21:22]
	v_mul_f64_e32 v[21:22], 0.5, v[23:24]
	s_delay_alu instid0(VALU_DEP_4) | instskip(SKIP_1) | instid1(VALU_DEP_3)
	v_mul_f64_e32 v[6:7], 0.5, v[6:7]
	s_wait_loadcnt 0x1
	v_mul_f64_e32 v[13:14], v[15:16], v[10:11]
	s_delay_alu instid0(VALU_DEP_2) | instskip(SKIP_1) | instid1(VALU_DEP_3)
	v_fma_f64 v[23:24], v[21:22], v[10:11], v[6:7]
	v_fma_f64 v[10:11], v[21:22], v[10:11], -v[6:7]
	v_fma_f64 v[25:26], v[4:5], 0.5, v[13:14]
	v_fma_f64 v[13:14], v[4:5], 0.5, -v[13:14]
	s_delay_alu instid0(VALU_DEP_4) | instskip(NEXT) | instid1(VALU_DEP_4)
	v_fma_f64 v[6:7], -v[8:9], v[15:16], v[23:24]
	v_fma_f64 v[10:11], -v[8:9], v[15:16], v[10:11]
	s_delay_alu instid0(VALU_DEP_4) | instskip(NEXT) | instid1(VALU_DEP_4)
	v_fma_f64 v[4:5], v[21:22], v[8:9], v[25:26]
	v_fma_f64 v[8:9], -v[21:22], v[8:9], v[13:14]
	ds_store_b128 v84, v[4:7] offset:9984
	ds_store_b128 v12, v[8:11] offset:22464
	ds_load_b128 v[4:7], v84 offset:12480
	ds_load_b128 v[8:11], v12 offset:19968
	s_wait_dscnt 0x0
	v_add_f64_e64 v[13:14], v[4:5], -v[8:9]
	v_add_f64_e32 v[15:16], v[6:7], v[10:11]
	v_add_f64_e64 v[6:7], v[6:7], -v[10:11]
	v_add_f64_e32 v[4:5], v[4:5], v[8:9]
	s_delay_alu instid0(VALU_DEP_4) | instskip(NEXT) | instid1(VALU_DEP_4)
	v_mul_f64_e32 v[10:11], 0.5, v[13:14]
	v_mul_f64_e32 v[13:14], 0.5, v[15:16]
	s_delay_alu instid0(VALU_DEP_4) | instskip(SKIP_1) | instid1(VALU_DEP_3)
	v_mul_f64_e32 v[6:7], 0.5, v[6:7]
	s_wait_loadcnt 0x0
	v_mul_f64_e32 v[8:9], v[10:11], v[19:20]
	s_delay_alu instid0(VALU_DEP_2) | instskip(SKIP_1) | instid1(VALU_DEP_3)
	v_fma_f64 v[15:16], v[13:14], v[19:20], v[6:7]
	v_fma_f64 v[19:20], v[13:14], v[19:20], -v[6:7]
	v_fma_f64 v[21:22], v[4:5], 0.5, v[8:9]
	v_fma_f64 v[8:9], v[4:5], 0.5, -v[8:9]
	s_delay_alu instid0(VALU_DEP_4) | instskip(NEXT) | instid1(VALU_DEP_4)
	v_fma_f64 v[6:7], -v[17:18], v[10:11], v[15:16]
	v_fma_f64 v[10:11], -v[17:18], v[10:11], v[19:20]
	s_delay_alu instid0(VALU_DEP_4) | instskip(NEXT) | instid1(VALU_DEP_4)
	v_fma_f64 v[4:5], v[13:14], v[17:18], v[21:22]
	v_fma_f64 v[8:9], -v[13:14], v[17:18], v[8:9]
	ds_store_b128 v84, v[4:7] offset:12480
	ds_store_b128 v12, v[8:11] offset:19968
	v_cmpx_gt_u32_e32 0x4e, v64
	s_cbranch_execz .LBB0_27
; %bb.26:
	global_load_b128 v[2:5], v[2:3], off offset:14976
	ds_load_b128 v[6:9], v84 offset:14976
	ds_load_b128 v[13:16], v12 offset:17472
	s_wait_dscnt 0x0
	v_add_f64_e64 v[10:11], v[6:7], -v[13:14]
	v_add_f64_e32 v[17:18], v[8:9], v[15:16]
	v_add_f64_e64 v[8:9], v[8:9], -v[15:16]
	v_add_f64_e32 v[6:7], v[6:7], v[13:14]
	s_delay_alu instid0(VALU_DEP_4) | instskip(NEXT) | instid1(VALU_DEP_4)
	v_mul_f64_e32 v[10:11], 0.5, v[10:11]
	v_mul_f64_e32 v[15:16], 0.5, v[17:18]
	s_delay_alu instid0(VALU_DEP_4) | instskip(SKIP_1) | instid1(VALU_DEP_3)
	v_mul_f64_e32 v[8:9], 0.5, v[8:9]
	s_wait_loadcnt 0x0
	v_mul_f64_e32 v[13:14], v[10:11], v[4:5]
	s_delay_alu instid0(VALU_DEP_2) | instskip(SKIP_1) | instid1(VALU_DEP_3)
	v_fma_f64 v[17:18], v[15:16], v[4:5], v[8:9]
	v_fma_f64 v[4:5], v[15:16], v[4:5], -v[8:9]
	v_fma_f64 v[8:9], v[6:7], 0.5, v[13:14]
	v_fma_f64 v[13:14], v[6:7], 0.5, -v[13:14]
	s_delay_alu instid0(VALU_DEP_4) | instskip(NEXT) | instid1(VALU_DEP_4)
	v_fma_f64 v[6:7], -v[2:3], v[10:11], v[17:18]
	v_fma_f64 v[10:11], -v[2:3], v[10:11], v[4:5]
	s_delay_alu instid0(VALU_DEP_4) | instskip(NEXT) | instid1(VALU_DEP_4)
	v_fma_f64 v[4:5], v[15:16], v[2:3], v[8:9]
	v_fma_f64 v[8:9], -v[15:16], v[2:3], v[13:14]
	ds_store_b128 v84, v[4:7] offset:14976
	ds_store_b128 v12, v[8:11] offset:17472
.LBB0_27:
	s_wait_alu 0xfffe
	s_or_b32 exec_lo, exec_lo, s1
	global_wb scope:SCOPE_SE
	s_wait_dscnt 0x0
	s_barrier_signal -1
	s_barrier_wait -1
	global_inv scope:SCOPE_SE
	s_and_saveexec_b32 s0, vcc_lo
	s_cbranch_execz .LBB0_30
; %bb.28:
	scratch_load_b64 v[2:3], off, off th:TH_LOAD_LU ; 8-byte Folded Reload
	ds_load_b128 v[4:7], v84
	ds_load_b128 v[8:11], v84 offset:2496
	ds_load_b128 v[12:15], v84 offset:4992
	;; [unrolled: 1-line block ×12, first 2 shown]
	s_wait_loadcnt 0x0
	v_add_co_u32 v2, vcc_lo, s8, v2
	s_wait_alu 0xfffd
	v_add_co_ci_u32_e32 v3, vcc_lo, s9, v3, vcc_lo
	s_delay_alu instid0(VALU_DEP_2) | instskip(SKIP_1) | instid1(VALU_DEP_2)
	v_add_co_u32 v0, vcc_lo, v2, v0
	s_wait_alu 0xfffd
	v_add_co_ci_u32_e32 v1, vcc_lo, v3, v1, vcc_lo
	v_cmp_eq_u32_e32 vcc_lo, 0x9b, v64
	s_wait_dscnt 0xc
	global_store_b128 v[0:1], v[4:7], off
	s_wait_dscnt 0xb
	global_store_b128 v[0:1], v[8:11], off offset:2496
	s_wait_dscnt 0xa
	global_store_b128 v[0:1], v[12:15], off offset:4992
	;; [unrolled: 2-line block ×12, first 2 shown]
	s_and_b32 exec_lo, exec_lo, vcc_lo
	s_cbranch_execz .LBB0_30
; %bb.29:
	v_mov_b32_e32 v0, 0
	ds_load_b128 v[4:7], v0 offset:32448
	s_wait_dscnt 0x0
	global_store_b128 v[2:3], v[4:7], off offset:32448
.LBB0_30:
	s_nop 0
	s_sendmsg sendmsg(MSG_DEALLOC_VGPRS)
	s_endpgm
	.section	.rodata,"a",@progbits
	.p2align	6, 0x0
	.amdhsa_kernel fft_rtc_fwd_len2028_factors_13_4_3_13_wgs_156_tpt_156_dp_ip_CI_unitstride_sbrr_R2C_dirReg
		.amdhsa_group_segment_fixed_size 0
		.amdhsa_private_segment_fixed_size 12
		.amdhsa_kernarg_size 88
		.amdhsa_user_sgpr_count 2
		.amdhsa_user_sgpr_dispatch_ptr 0
		.amdhsa_user_sgpr_queue_ptr 0
		.amdhsa_user_sgpr_kernarg_segment_ptr 1
		.amdhsa_user_sgpr_dispatch_id 0
		.amdhsa_user_sgpr_private_segment_size 0
		.amdhsa_wavefront_size32 1
		.amdhsa_uses_dynamic_stack 0
		.amdhsa_enable_private_segment 1
		.amdhsa_system_sgpr_workgroup_id_x 1
		.amdhsa_system_sgpr_workgroup_id_y 0
		.amdhsa_system_sgpr_workgroup_id_z 0
		.amdhsa_system_sgpr_workgroup_info 0
		.amdhsa_system_vgpr_workitem_id 0
		.amdhsa_next_free_vgpr 256
		.amdhsa_next_free_sgpr 40
		.amdhsa_reserve_vcc 1
		.amdhsa_float_round_mode_32 0
		.amdhsa_float_round_mode_16_64 0
		.amdhsa_float_denorm_mode_32 3
		.amdhsa_float_denorm_mode_16_64 3
		.amdhsa_fp16_overflow 0
		.amdhsa_workgroup_processor_mode 1
		.amdhsa_memory_ordered 1
		.amdhsa_forward_progress 0
		.amdhsa_round_robin_scheduling 0
		.amdhsa_exception_fp_ieee_invalid_op 0
		.amdhsa_exception_fp_denorm_src 0
		.amdhsa_exception_fp_ieee_div_zero 0
		.amdhsa_exception_fp_ieee_overflow 0
		.amdhsa_exception_fp_ieee_underflow 0
		.amdhsa_exception_fp_ieee_inexact 0
		.amdhsa_exception_int_div_zero 0
	.end_amdhsa_kernel
	.text
.Lfunc_end0:
	.size	fft_rtc_fwd_len2028_factors_13_4_3_13_wgs_156_tpt_156_dp_ip_CI_unitstride_sbrr_R2C_dirReg, .Lfunc_end0-fft_rtc_fwd_len2028_factors_13_4_3_13_wgs_156_tpt_156_dp_ip_CI_unitstride_sbrr_R2C_dirReg
                                        ; -- End function
	.section	.AMDGPU.csdata,"",@progbits
; Kernel info:
; codeLenInByte = 13152
; NumSgprs: 42
; NumVgprs: 256
; ScratchSize: 12
; MemoryBound: 0
; FloatMode: 240
; IeeeMode: 1
; LDSByteSize: 0 bytes/workgroup (compile time only)
; SGPRBlocks: 5
; VGPRBlocks: 31
; NumSGPRsForWavesPerEU: 42
; NumVGPRsForWavesPerEU: 256
; Occupancy: 5
; WaveLimiterHint : 1
; COMPUTE_PGM_RSRC2:SCRATCH_EN: 1
; COMPUTE_PGM_RSRC2:USER_SGPR: 2
; COMPUTE_PGM_RSRC2:TRAP_HANDLER: 0
; COMPUTE_PGM_RSRC2:TGID_X_EN: 1
; COMPUTE_PGM_RSRC2:TGID_Y_EN: 0
; COMPUTE_PGM_RSRC2:TGID_Z_EN: 0
; COMPUTE_PGM_RSRC2:TIDIG_COMP_CNT: 0
	.text
	.p2alignl 7, 3214868480
	.fill 96, 4, 3214868480
	.type	__hip_cuid_b0b2feadfc1cc222,@object ; @__hip_cuid_b0b2feadfc1cc222
	.section	.bss,"aw",@nobits
	.globl	__hip_cuid_b0b2feadfc1cc222
__hip_cuid_b0b2feadfc1cc222:
	.byte	0                               ; 0x0
	.size	__hip_cuid_b0b2feadfc1cc222, 1

	.ident	"AMD clang version 19.0.0git (https://github.com/RadeonOpenCompute/llvm-project roc-6.4.0 25133 c7fe45cf4b819c5991fe208aaa96edf142730f1d)"
	.section	".note.GNU-stack","",@progbits
	.addrsig
	.addrsig_sym __hip_cuid_b0b2feadfc1cc222
	.amdgpu_metadata
---
amdhsa.kernels:
  - .args:
      - .actual_access:  read_only
        .address_space:  global
        .offset:         0
        .size:           8
        .value_kind:     global_buffer
      - .offset:         8
        .size:           8
        .value_kind:     by_value
      - .actual_access:  read_only
        .address_space:  global
        .offset:         16
        .size:           8
        .value_kind:     global_buffer
      - .actual_access:  read_only
        .address_space:  global
        .offset:         24
        .size:           8
        .value_kind:     global_buffer
      - .offset:         32
        .size:           8
        .value_kind:     by_value
      - .actual_access:  read_only
        .address_space:  global
        .offset:         40
        .size:           8
        .value_kind:     global_buffer
      - .actual_access:  read_only
        .address_space:  global
        .offset:         48
        .size:           8
        .value_kind:     global_buffer
      - .offset:         56
        .size:           4
        .value_kind:     by_value
      - .actual_access:  read_only
        .address_space:  global
        .offset:         64
        .size:           8
        .value_kind:     global_buffer
      - .actual_access:  read_only
        .address_space:  global
        .offset:         72
        .size:           8
        .value_kind:     global_buffer
      - .address_space:  global
        .offset:         80
        .size:           8
        .value_kind:     global_buffer
    .group_segment_fixed_size: 0
    .kernarg_segment_align: 8
    .kernarg_segment_size: 88
    .language:       OpenCL C
    .language_version:
      - 2
      - 0
    .max_flat_workgroup_size: 156
    .name:           fft_rtc_fwd_len2028_factors_13_4_3_13_wgs_156_tpt_156_dp_ip_CI_unitstride_sbrr_R2C_dirReg
    .private_segment_fixed_size: 12
    .sgpr_count:     42
    .sgpr_spill_count: 0
    .symbol:         fft_rtc_fwd_len2028_factors_13_4_3_13_wgs_156_tpt_156_dp_ip_CI_unitstride_sbrr_R2C_dirReg.kd
    .uniform_work_group_size: 1
    .uses_dynamic_stack: false
    .vgpr_count:     256
    .vgpr_spill_count: 2
    .wavefront_size: 32
    .workgroup_processor_mode: 1
amdhsa.target:   amdgcn-amd-amdhsa--gfx1201
amdhsa.version:
  - 1
  - 2
...

	.end_amdgpu_metadata
